;; amdgpu-corpus repo=ROCm/rocFFT kind=compiled arch=gfx950 opt=O3
	.text
	.amdgcn_target "amdgcn-amd-amdhsa--gfx950"
	.amdhsa_code_object_version 6
	.protected	fft_rtc_back_len910_factors_13_2_7_5_wgs_182_tpt_91_dp_ip_CI_unitstride_sbrr_R2C_dirReg ; -- Begin function fft_rtc_back_len910_factors_13_2_7_5_wgs_182_tpt_91_dp_ip_CI_unitstride_sbrr_R2C_dirReg
	.globl	fft_rtc_back_len910_factors_13_2_7_5_wgs_182_tpt_91_dp_ip_CI_unitstride_sbrr_R2C_dirReg
	.p2align	8
	.type	fft_rtc_back_len910_factors_13_2_7_5_wgs_182_tpt_91_dp_ip_CI_unitstride_sbrr_R2C_dirReg,@function
fft_rtc_back_len910_factors_13_2_7_5_wgs_182_tpt_91_dp_ip_CI_unitstride_sbrr_R2C_dirReg: ; @fft_rtc_back_len910_factors_13_2_7_5_wgs_182_tpt_91_dp_ip_CI_unitstride_sbrr_R2C_dirReg
; %bb.0:
	s_load_dwordx2 s[8:9], s[0:1], 0x50
	s_load_dwordx4 s[4:7], s[0:1], 0x0
	s_load_dwordx2 s[10:11], s[0:1], 0x18
	v_mul_u32_u24_e32 v1, 0x2d1, v0
	v_lshrrev_b32_e32 v1, 16, v1
	v_lshl_add_u32 v6, s2, 1, v1
	v_mov_b32_e32 v4, 0
	s_waitcnt lgkmcnt(0)
	v_cmp_lt_u64_e64 s[2:3], s[6:7], 2
	v_mov_b32_e32 v7, v4
	s_and_b64 vcc, exec, s[2:3]
	v_mov_b64_e32 v[2:3], 0
	s_cbranch_vccnz .LBB0_8
; %bb.1:
	s_load_dwordx2 s[2:3], s[0:1], 0x10
	s_add_u32 s12, s10, 8
	s_addc_u32 s13, s11, 0
	s_mov_b64 s[14:15], 1
	v_mov_b64_e32 v[2:3], 0
	s_waitcnt lgkmcnt(0)
	s_add_u32 s16, s2, 8
	s_addc_u32 s17, s3, 0
.LBB0_2:                                ; =>This Inner Loop Header: Depth=1
	s_load_dwordx2 s[18:19], s[16:17], 0x0
                                        ; implicit-def: $vgpr8_vgpr9
	s_waitcnt lgkmcnt(0)
	v_or_b32_e32 v5, s19, v7
	v_cmp_ne_u64_e32 vcc, 0, v[4:5]
	s_and_saveexec_b64 s[2:3], vcc
	s_xor_b64 s[20:21], exec, s[2:3]
	s_cbranch_execz .LBB0_4
; %bb.3:                                ;   in Loop: Header=BB0_2 Depth=1
	v_cvt_f32_u32_e32 v5, s18
	v_cvt_f32_u32_e32 v8, s19
	s_sub_u32 s2, 0, s18
	s_subb_u32 s3, 0, s19
	v_fmac_f32_e32 v5, 0x4f800000, v8
	v_rcp_f32_e32 v5, v5
	s_nop 0
	v_mul_f32_e32 v5, 0x5f7ffffc, v5
	v_mul_f32_e32 v8, 0x2f800000, v5
	v_trunc_f32_e32 v8, v8
	v_fmac_f32_e32 v5, 0xcf800000, v8
	v_cvt_u32_f32_e32 v12, v8
	v_cvt_u32_f32_e32 v5, v5
	v_mul_lo_u32 v8, s2, v12
	v_mul_hi_u32 v10, s2, v5
	v_mul_lo_u32 v9, s3, v5
	v_add_u32_e32 v10, v10, v8
	v_mul_lo_u32 v13, s2, v5
	v_add_u32_e32 v14, v10, v9
	v_mul_hi_u32 v8, v5, v13
	v_mul_hi_u32 v11, v5, v14
	v_mul_lo_u32 v10, v5, v14
	v_mov_b32_e32 v9, v4
	v_lshl_add_u64 v[8:9], v[8:9], 0, v[10:11]
	v_mul_hi_u32 v11, v12, v13
	v_mul_lo_u32 v13, v12, v13
	v_add_co_u32_e32 v8, vcc, v8, v13
	v_mul_hi_u32 v10, v12, v14
	s_nop 0
	v_addc_co_u32_e32 v8, vcc, v9, v11, vcc
	v_mov_b32_e32 v9, v4
	s_nop 0
	v_addc_co_u32_e32 v11, vcc, 0, v10, vcc
	v_mul_lo_u32 v10, v12, v14
	v_lshl_add_u64 v[8:9], v[8:9], 0, v[10:11]
	v_add_co_u32_e32 v5, vcc, v5, v8
	v_mul_lo_u32 v10, s2, v5
	s_nop 0
	v_addc_co_u32_e32 v12, vcc, v12, v9, vcc
	v_mul_lo_u32 v8, s2, v12
	v_mul_hi_u32 v9, s2, v5
	v_add_u32_e32 v8, v9, v8
	v_mul_lo_u32 v9, s3, v5
	v_add_u32_e32 v13, v8, v9
	v_mul_hi_u32 v15, v12, v10
	v_mul_lo_u32 v16, v12, v10
	v_mul_hi_u32 v9, v5, v13
	v_mul_lo_u32 v8, v5, v13
	v_mul_hi_u32 v10, v5, v10
	v_mov_b32_e32 v11, v4
	v_lshl_add_u64 v[8:9], v[10:11], 0, v[8:9]
	v_add_co_u32_e32 v8, vcc, v8, v16
	v_mul_hi_u32 v14, v12, v13
	s_nop 0
	v_addc_co_u32_e32 v8, vcc, v9, v15, vcc
	v_mul_lo_u32 v10, v12, v13
	s_nop 0
	v_addc_co_u32_e32 v11, vcc, 0, v14, vcc
	v_mov_b32_e32 v9, v4
	v_lshl_add_u64 v[8:9], v[8:9], 0, v[10:11]
	v_add_co_u32_e32 v5, vcc, v5, v8
	v_mul_hi_u32 v10, v6, v5
	s_nop 0
	v_addc_co_u32_e32 v12, vcc, v12, v9, vcc
	v_mad_u64_u32 v[8:9], s[2:3], v6, v12, 0
	v_mov_b32_e32 v11, v4
	v_lshl_add_u64 v[8:9], v[10:11], 0, v[8:9]
	v_mad_u64_u32 v[10:11], s[2:3], v7, v12, 0
	v_mad_u64_u32 v[12:13], s[2:3], v7, v5, 0
	v_add_co_u32_e32 v5, vcc, v8, v12
	s_nop 1
	v_addc_co_u32_e32 v8, vcc, v9, v13, vcc
	v_mov_b32_e32 v9, v4
	s_nop 0
	v_addc_co_u32_e32 v11, vcc, 0, v11, vcc
	v_lshl_add_u64 v[8:9], v[8:9], 0, v[10:11]
	v_mul_lo_u32 v5, s19, v8
	v_mul_lo_u32 v12, s18, v9
	v_mad_u64_u32 v[10:11], s[2:3], s18, v8, 0
	v_add3_u32 v5, v11, v12, v5
	v_sub_u32_e32 v11, v7, v5
	v_mov_b32_e32 v12, s19
	v_sub_co_u32_e32 v14, vcc, v6, v10
	s_nop 1
	v_subb_co_u32_e64 v10, s[2:3], v11, v12, vcc
	v_subrev_co_u32_e64 v11, s[2:3], s18, v14
	v_subb_co_u32_e32 v5, vcc, v7, v5, vcc
	s_nop 0
	v_subbrev_co_u32_e64 v10, s[2:3], 0, v10, s[2:3]
	v_cmp_le_u32_e64 s[2:3], s19, v10
	v_cmp_le_u32_e32 vcc, s19, v5
	s_nop 0
	v_cndmask_b32_e64 v12, 0, -1, s[2:3]
	v_cmp_le_u32_e64 s[2:3], s18, v11
	s_nop 1
	v_cndmask_b32_e64 v11, 0, -1, s[2:3]
	v_cmp_eq_u32_e64 s[2:3], s19, v10
	s_nop 1
	v_cndmask_b32_e64 v15, v12, v11, s[2:3]
	v_lshl_add_u64 v[10:11], v[8:9], 0, 2
	v_lshl_add_u64 v[12:13], v[8:9], 0, 1
	v_cmp_ne_u32_e64 s[2:3], 0, v15
	s_nop 1
	v_cndmask_b32_e64 v11, v13, v11, s[2:3]
	v_cndmask_b32_e64 v13, 0, -1, vcc
	v_cmp_le_u32_e32 vcc, s18, v14
	s_nop 1
	v_cndmask_b32_e64 v14, 0, -1, vcc
	v_cmp_eq_u32_e32 vcc, s19, v5
	s_nop 1
	v_cndmask_b32_e32 v5, v13, v14, vcc
	v_cmp_ne_u32_e32 vcc, 0, v5
	v_cndmask_b32_e64 v5, v12, v10, s[2:3]
	s_nop 0
	v_cndmask_b32_e32 v9, v9, v11, vcc
	v_cndmask_b32_e32 v8, v8, v5, vcc
.LBB0_4:                                ;   in Loop: Header=BB0_2 Depth=1
	s_andn2_saveexec_b64 s[2:3], s[20:21]
	s_cbranch_execz .LBB0_6
; %bb.5:                                ;   in Loop: Header=BB0_2 Depth=1
	v_cvt_f32_u32_e32 v5, s18
	s_sub_i32 s20, 0, s18
	v_rcp_iflag_f32_e32 v5, v5
	s_nop 0
	v_mul_f32_e32 v5, 0x4f7ffffe, v5
	v_cvt_u32_f32_e32 v5, v5
	v_mul_lo_u32 v8, s20, v5
	v_mul_hi_u32 v8, v5, v8
	v_add_u32_e32 v5, v5, v8
	v_mul_hi_u32 v5, v6, v5
	v_mul_lo_u32 v8, v5, s18
	v_sub_u32_e32 v8, v6, v8
	v_add_u32_e32 v9, 1, v5
	v_subrev_u32_e32 v10, s18, v8
	v_cmp_le_u32_e32 vcc, s18, v8
	s_nop 1
	v_cndmask_b32_e32 v8, v8, v10, vcc
	v_cndmask_b32_e32 v5, v5, v9, vcc
	v_add_u32_e32 v9, 1, v5
	v_cmp_le_u32_e32 vcc, s18, v8
	s_nop 1
	v_cndmask_b32_e32 v8, v5, v9, vcc
	v_mov_b32_e32 v9, v4
.LBB0_6:                                ;   in Loop: Header=BB0_2 Depth=1
	s_or_b64 exec, exec, s[2:3]
	v_mad_u64_u32 v[10:11], s[2:3], v8, s18, 0
	s_load_dwordx2 s[2:3], s[12:13], 0x0
	v_mul_lo_u32 v5, v9, s18
	v_mul_lo_u32 v12, v8, s19
	v_add3_u32 v5, v11, v12, v5
	v_sub_co_u32_e32 v6, vcc, v6, v10
	s_add_u32 s14, s14, 1
	s_nop 0
	v_subb_co_u32_e32 v5, vcc, v7, v5, vcc
	s_addc_u32 s15, s15, 0
	s_waitcnt lgkmcnt(0)
	v_mul_lo_u32 v5, s2, v5
	v_mul_lo_u32 v7, s3, v6
	v_mad_u64_u32 v[2:3], s[2:3], s2, v6, v[2:3]
	s_add_u32 s12, s12, 8
	v_add3_u32 v3, v7, v3, v5
	s_addc_u32 s13, s13, 0
	v_mov_b64_e32 v[6:7], s[6:7]
	s_add_u32 s16, s16, 8
	v_cmp_ge_u64_e32 vcc, s[14:15], v[6:7]
	s_addc_u32 s17, s17, 0
	s_cbranch_vccnz .LBB0_9
; %bb.7:                                ;   in Loop: Header=BB0_2 Depth=1
	v_mov_b64_e32 v[6:7], v[8:9]
	s_branch .LBB0_2
.LBB0_8:
	v_mov_b64_e32 v[8:9], v[6:7]
.LBB0_9:
	s_lshl_b64 s[2:3], s[6:7], 3
	s_add_u32 s2, s10, s2
	s_addc_u32 s3, s11, s3
	s_load_dwordx2 s[6:7], s[2:3], 0x0
	s_load_dwordx2 s[10:11], s[0:1], 0x20
	v_and_b32_e32 v1, 1, v1
	s_mov_b32 s2, 0x2d02d03
	v_cmp_eq_u32_e32 vcc, 1, v1
	s_waitcnt lgkmcnt(0)
	v_mul_lo_u32 v4, s6, v9
	v_mul_lo_u32 v5, s7, v8
	v_mad_u64_u32 v[2:3], s[0:1], s6, v8, v[2:3]
	v_mul_hi_u32 v1, v0, s2
	v_add3_u32 v3, v5, v3, v4
	v_mov_b32_e32 v4, 0x38f
	v_mul_u32_u24_e32 v1, 0x5b, v1
	v_cndmask_b32_e32 v223, 0, v4, vcc
	v_sub_u32_e32 v86, v0, v1
	v_cmp_gt_u64_e64 s[0:1], s[10:11], v[8:9]
	v_lshl_add_u64 v[84:85], v[2:3], 4, s[8:9]
	v_lshlrev_b32_e32 v225, 4, v223
	v_lshlrev_b32_e32 v222, 4, v86
	s_and_saveexec_b64 s[2:3], s[0:1]
	s_cbranch_execz .LBB0_11
; %bb.10:
	v_mov_b32_e32 v87, 0
	v_lshl_add_u64 v[32:33], v[86:87], 4, v[84:85]
	v_add_co_u32_e32 v24, vcc, 0x1000, v32
	global_load_dwordx4 v[0:3], v[32:33], off
	global_load_dwordx4 v[4:7], v[32:33], off offset:1456
	v_addc_co_u32_e32 v25, vcc, 0, v33, vcc
	v_add_co_u32_e32 v40, vcc, 0x2000, v32
	global_load_dwordx4 v[8:11], v[32:33], off offset:2912
	global_load_dwordx4 v[12:15], v[24:25], off offset:272
	;; [unrolled: 1-line block ×4, first 2 shown]
	v_addc_co_u32_e32 v41, vcc, 0, v33, vcc
	v_add_co_u32_e32 v42, vcc, 0x3000, v32
	global_load_dwordx4 v[24:27], v[40:41], off offset:544
	global_load_dwordx4 v[28:31], v[40:41], off offset:2000
	v_addc_co_u32_e32 v43, vcc, 0, v33, vcc
	global_load_dwordx4 v[32:35], v[40:41], off offset:3456
	global_load_dwordx4 v[36:39], v[42:43], off offset:816
	v_add3_u32 v40, 0, v225, v222
	s_waitcnt vmcnt(9)
	ds_write_b128 v40, v[0:3]
	s_waitcnt vmcnt(8)
	ds_write_b128 v40, v[4:7] offset:1456
	s_waitcnt vmcnt(7)
	ds_write_b128 v40, v[8:11] offset:2912
	;; [unrolled: 2-line block ×9, first 2 shown]
.LBB0_11:
	s_or_b64 exec, exec, s[2:3]
	v_add_u32_e32 v224, 0, v222
	v_add_u32_e32 v221, 0, v225
	;; [unrolled: 1-line block ×3, first 2 shown]
	s_waitcnt lgkmcnt(0)
	s_barrier
	ds_read_b128 v[12:15], v87 offset:13440
	ds_read_b128 v[16:19], v87 offset:1120
	v_add_u32_e32 v220, v221, v222
	ds_read_b128 v[20:23], v220
	ds_read_b128 v[24:27], v87 offset:2240
	ds_read_b128 v[28:31], v87 offset:3360
	;; [unrolled: 1-line block ×4, first 2 shown]
	s_mov_b32 s36, 0x4267c47c
	s_waitcnt lgkmcnt(5)
	v_add_f64 v[80:81], v[18:19], -v[14:15]
	s_mov_b32 s2, 0xe00740e9
	s_mov_b32 s37, 0xbfddbe06
	;; [unrolled: 1-line block ×3, first 2 shown]
	ds_read_b128 v[40:43], v87 offset:10080
	ds_read_b128 v[44:47], v87 offset:4480
	v_add_f64 v[96:97], v[16:17], v[12:13]
	v_add_f64 v[102:103], v[18:19], v[14:15]
	s_mov_b32 s3, 0x3fec55a7
	v_mul_f64 v[88:89], v[80:81], s[36:37]
	s_mov_b32 s6, 0x1ea71119
	s_mov_b32 s9, 0xbfea55e2
	s_waitcnt lgkmcnt(3)
	v_add_f64 v[120:121], v[26:27], -v[34:35]
	v_add_f64 v[82:83], v[16:17], -v[12:13]
	v_mul_f64 v[90:91], v[102:103], s[2:3]
	v_fma_f64 v[0:1], v[96:97], s[2:3], -v[88:89]
	s_mov_b32 s7, 0x3fe22d96
	v_add_f64 v[104:105], v[24:25], v[32:33]
	v_add_f64 v[108:109], v[26:27], v[34:35]
	v_mul_f64 v[92:93], v[120:121], s[8:9]
	s_mov_b32 s16, 0x66966769
	ds_read_b128 v[48:51], v87 offset:5600
	ds_read_b128 v[52:55], v87 offset:8960
	v_add_f64 v[0:1], v[20:21], v[0:1]
	v_fma_f64 v[2:3], s[36:37], v[82:83], v[90:91]
	v_add_f64 v[116:117], v[24:25], -v[32:33]
	v_fma_f64 v[4:5], v[104:105], s[6:7], -v[92:93]
	v_mul_f64 v[94:95], v[108:109], s[6:7]
	s_mov_b32 s10, 0xebaa3ed8
	s_mov_b32 s17, 0xbfefc445
	s_waitcnt lgkmcnt(4)
	v_add_f64 v[134:135], v[30:31], -v[38:39]
	v_add_f64 v[2:3], v[22:23], v[2:3]
	v_add_f64 v[0:1], v[4:5], v[0:1]
	v_fma_f64 v[4:5], s[8:9], v[116:117], v[94:95]
	s_mov_b32 s11, 0x3fbedb7d
	v_add_f64 v[114:115], v[28:29], v[36:37]
	v_mul_f64 v[98:99], v[134:135], s[16:17]
	v_add_f64 v[126:127], v[30:31], v[38:39]
	s_mov_b32 s18, 0x2ef20147
	ds_read_b128 v[56:59], v87 offset:6720
	ds_read_b128 v[60:63], v87 offset:7840
	v_add_f64 v[2:3], v[4:5], v[2:3]
	v_fma_f64 v[4:5], v[114:115], s[10:11], -v[98:99]
	v_add_f64 v[124:125], v[28:29], -v[36:37]
	v_mul_f64 v[100:101], v[126:127], s[10:11]
	s_mov_b32 s12, 0xb2365da1
	s_mov_b32 s19, 0xbfedeba7
	s_waitcnt lgkmcnt(4)
	v_add_f64 v[184:185], v[46:47], -v[42:43]
	v_add_f64 v[0:1], v[4:5], v[0:1]
	v_fma_f64 v[4:5], s[16:17], v[124:125], v[100:101]
	s_mov_b32 s13, 0xbfd6b1d8
	v_add_f64 v[140:141], v[44:45], v[40:41]
	v_mul_f64 v[106:107], v[184:185], s[18:19]
	v_add_f64 v[168:169], v[46:47], v[42:43]
	s_mov_b32 s26, 0x24c2f84
	v_add_f64 v[2:3], v[4:5], v[2:3]
	v_fma_f64 v[4:5], v[140:141], s[12:13], -v[106:107]
	v_add_f64 v[158:159], v[44:45], -v[40:41]
	v_mul_f64 v[112:113], v[168:169], s[12:13]
	s_mov_b32 s20, 0xd0032e0c
	s_mov_b32 s27, 0x3fe5384d
	;; [unrolled: 1-line block ×4, first 2 shown]
	s_waitcnt lgkmcnt(2)
	v_add_f64 v[196:197], v[50:51], -v[54:55]
	v_add_f64 v[0:1], v[4:5], v[0:1]
	v_fma_f64 v[4:5], s[18:19], v[158:159], v[112:113]
	s_mov_b32 s21, 0xbfe7f3cc
	v_add_f64 v[138:139], v[48:49], v[52:53]
	v_mul_f64 v[110:111], v[196:197], s[22:23]
	v_add_f64 v[178:179], v[50:51], v[54:55]
	v_add_f64 v[2:3], v[4:5], v[2:3]
	v_fma_f64 v[4:5], v[138:139], s[20:21], -v[110:111]
	v_add_f64 v[148:149], v[48:49], -v[52:53]
	v_mul_f64 v[118:119], v[178:179], s[20:21]
	s_mov_b32 s24, 0x93053d00
	s_mov_b32 s35, 0xbfcea1e5
	;; [unrolled: 1-line block ×3, first 2 shown]
	s_waitcnt lgkmcnt(0)
	v_add_f64 v[218:219], v[58:59], -v[62:63]
	v_add_f64 v[0:1], v[4:5], v[0:1]
	v_fma_f64 v[4:5], s[22:23], v[148:149], v[118:119]
	s_mov_b32 s25, 0xbfef11f4
	v_add_f64 v[160:161], v[56:57], v[60:61]
	v_mul_f64 v[122:123], v[218:219], s[34:35]
	v_add_f64 v[208:209], v[58:59], v[62:63]
	v_add_f64 v[2:3], v[4:5], v[2:3]
	v_fma_f64 v[4:5], v[160:161], s[24:25], -v[122:123]
	v_add_f64 v[164:165], v[56:57], -v[60:61]
	v_mul_f64 v[128:129], v[208:209], s[24:25]
	v_add_f64 v[0:1], v[4:5], v[0:1]
	v_fma_f64 v[4:5], s[34:35], v[164:165], v[128:129]
	v_mul_f64 v[130:131], v[80:81], s[8:9]
	v_add_f64 v[2:3], v[4:5], v[2:3]
	v_fma_f64 v[4:5], v[96:97], s[6:7], -v[130:131]
	v_mul_f64 v[132:133], v[120:121], s[18:19]
	v_add_f64 v[4:5], v[20:21], v[4:5]
	v_fma_f64 v[6:7], v[104:105], s[12:13], -v[132:133]
	v_mul_f64 v[142:143], v[102:103], s[6:7]
	v_add_f64 v[4:5], v[6:7], v[4:5]
	v_fma_f64 v[6:7], s[8:9], v[82:83], v[142:143]
	v_mul_f64 v[146:147], v[108:109], s[12:13]
	v_add_f64 v[6:7], v[22:23], v[6:7]
	v_fma_f64 v[8:9], s[18:19], v[116:117], v[146:147]
	v_mul_f64 v[136:137], v[134:135], s[34:35]
	v_add_f64 v[6:7], v[8:9], v[6:7]
	v_fma_f64 v[8:9], v[114:115], s[24:25], -v[136:137]
	v_mul_f64 v[152:153], v[126:127], s[24:25]
	v_add_f64 v[4:5], v[8:9], v[4:5]
	v_fma_f64 v[8:9], s[34:35], v[124:125], v[152:153]
	v_mul_f64 v[144:145], v[184:185], s[26:27]
	v_add_f64 v[6:7], v[8:9], v[6:7]
	v_fma_f64 v[8:9], v[140:141], s[20:21], -v[144:145]
	v_mul_f64 v[154:155], v[168:169], s[20:21]
	s_mov_b32 s31, 0x3fefc445
	s_mov_b32 s30, s16
	v_add_f64 v[4:5], v[8:9], v[4:5]
	v_fma_f64 v[8:9], s[26:27], v[158:159], v[154:155]
	v_mul_f64 v[150:151], v[196:197], s[30:31]
	v_add_f64 v[6:7], v[8:9], v[6:7]
	v_fma_f64 v[8:9], v[138:139], s[10:11], -v[150:151]
	v_mul_f64 v[162:163], v[178:179], s[10:11]
	s_mov_b32 s29, 0x3fddbe06
	s_mov_b32 s28, s36
	v_add_f64 v[4:5], v[8:9], v[4:5]
	v_fma_f64 v[8:9], s[30:31], v[148:149], v[162:163]
	v_mul_f64 v[156:157], v[218:219], s[28:29]
	v_add_f64 v[6:7], v[8:9], v[6:7]
	v_fma_f64 v[8:9], v[160:161], s[2:3], -v[156:157]
	v_mul_f64 v[166:167], v[208:209], s[2:3]
	v_add_f64 v[4:5], v[8:9], v[4:5]
	v_fma_f64 v[8:9], s[28:29], v[164:165], v[166:167]
	v_mul_f64 v[172:173], v[80:81], s[16:17]
	v_add_f64 v[6:7], v[8:9], v[6:7]
	v_fma_f64 v[8:9], v[96:97], s[10:11], -v[172:173]
	v_mul_f64 v[174:175], v[120:121], s[34:35]
	v_add_f64 v[8:9], v[20:21], v[8:9]
	v_fma_f64 v[10:11], v[104:105], s[24:25], -v[174:175]
	v_mul_f64 v[182:183], v[102:103], s[10:11]
	v_add_f64 v[8:9], v[10:11], v[8:9]
	v_fma_f64 v[10:11], s[16:17], v[82:83], v[182:183]
	v_mul_f64 v[190:191], v[108:109], s[24:25]
	s_mov_b32 s39, 0x3fedeba7
	s_mov_b32 s38, s18
	v_add_f64 v[10:11], v[22:23], v[10:11]
	v_fma_f64 v[64:65], s[34:35], v[116:117], v[190:191]
	v_mul_f64 v[180:181], v[134:135], s[38:39]
	v_add_f64 v[10:11], v[64:65], v[10:11]
	v_fma_f64 v[64:65], v[114:115], s[12:13], -v[180:181]
	v_mul_f64 v[194:195], v[126:127], s[12:13]
	v_add_f64 v[8:9], v[64:65], v[8:9]
	v_fma_f64 v[64:65], s[38:39], v[124:125], v[194:195]
	v_mul_f64 v[186:187], v[184:185], s[28:29]
	v_add_f64 v[10:11], v[64:65], v[10:11]
	v_fma_f64 v[64:65], v[140:141], s[2:3], -v[186:187]
	v_mul_f64 v[202:203], v[168:169], s[2:3]
	;; [unrolled: 6-line block ×4, first 2 shown]
	v_add_f64 v[8:9], v[64:65], v[8:9]
	v_fma_f64 v[64:65], s[22:23], v[164:165], v[214:215]
	s_movk_i32 s14, 0x46
	v_add_f64 v[10:11], v[64:65], v[10:11]
	v_cmp_gt_u32_e32 vcc, s14, v86
	s_barrier
	s_and_saveexec_b64 s[14:15], vcc
	s_cbranch_execz .LBB0_13
; %bb.12:
	v_mul_f64 v[230:231], v[82:83], s[34:35]
	v_mul_f64 v[226:227], v[116:117], s[28:29]
	v_fma_f64 v[232:233], s[24:25], v[102:103], v[230:231]
	v_mul_f64 v[244:245], v[80:81], s[34:35]
	v_mul_f64 v[176:177], v[82:83], s[36:37]
	s_mov_b32 s37, 0x3fea55e2
	s_mov_b32 s36, s8
	v_mul_f64 v[76:77], v[124:125], s[22:23]
	v_fma_f64 v[228:229], s[2:3], v[108:109], v[226:227]
	v_add_f64 v[232:233], v[22:23], v[232:233]
	v_mul_f64 v[240:241], v[120:121], s[28:29]
	v_fma_f64 v[246:247], v[96:97], s[24:25], -v[244:245]
	v_mul_f64 v[72:73], v[158:159], s[36:37]
	v_fma_f64 v[78:79], s[20:21], v[126:127], v[76:77]
	v_add_f64 v[228:229], v[228:229], v[232:233]
	v_mul_f64 v[236:237], v[134:135], s[22:23]
	v_fma_f64 v[242:243], v[104:105], s[2:3], -v[240:241]
	v_add_f64 v[246:247], v[20:21], v[246:247]
	v_mul_f64 v[70:71], v[148:149], s[18:19]
	v_fma_f64 v[74:75], s[6:7], v[168:169], v[72:73]
	v_add_f64 v[78:79], v[78:79], v[228:229]
	v_mul_f64 v[232:233], v[184:185], s[36:37]
	v_fma_f64 v[238:239], v[114:115], s[20:21], -v[236:237]
	v_add_f64 v[242:243], v[242:243], v[246:247]
	;; [unrolled: 6-line block ×3, first 2 shown]
	v_fma_f64 v[64:65], s[10:11], v[208:209], v[68:69]
	v_add_f64 v[66:67], v[66:67], v[74:75]
	v_mul_f64 v[74:75], v[218:219], s[30:31]
	v_fma_f64 v[228:229], v[138:139], s[12:13], -v[78:79]
	v_add_f64 v[234:235], v[234:235], v[238:239]
	v_add_f64 v[66:67], v[64:65], v[66:67]
	v_fma_f64 v[64:65], v[160:161], s[10:11], -v[74:75]
	v_add_f64 v[228:229], v[228:229], v[234:235]
	v_add_f64 v[64:65], v[64:65], v[228:229]
	v_fma_f64 v[228:229], v[102:103], s[24:25], -v[230:231]
	v_fma_f64 v[226:227], v[108:109], s[2:3], -v[226:227]
	v_add_f64 v[228:229], v[22:23], v[228:229]
	v_fma_f64 v[76:77], v[126:127], s[20:21], -v[76:77]
	v_add_f64 v[226:227], v[226:227], v[228:229]
	;; [unrolled: 2-line block ×5, first 2 shown]
	v_fmac_f64_e32 v[244:245], s[24:25], v[96:97]
	v_add_f64 v[70:71], v[68:69], v[70:71]
	v_fmac_f64_e32 v[240:241], s[2:3], v[104:105]
	v_add_f64 v[68:69], v[20:21], v[244:245]
	v_mul_f64 v[238:239], v[82:83], s[22:23]
	v_fmac_f64_e32 v[236:237], s[20:21], v[114:115]
	v_add_f64 v[68:69], v[240:241], v[68:69]
	v_mul_f64 v[234:235], v[116:117], s[30:31]
	v_fma_f64 v[240:241], s[20:21], v[102:103], v[238:239]
	v_mul_f64 v[216:217], v[116:117], s[34:35]
	v_mul_f64 v[210:211], v[124:125], s[34:35]
	;; [unrolled: 1-line block ×3, first 2 shown]
	v_fmac_f64_e32 v[232:233], s[6:7], v[140:141]
	v_add_f64 v[68:69], v[236:237], v[68:69]
	s_mov_b32 s35, 0x3fcea1e5
	v_mul_f64 v[230:231], v[124:125], s[8:9]
	v_fma_f64 v[236:237], s[10:11], v[108:109], v[234:235]
	v_add_f64 v[240:241], v[22:23], v[240:241]
	v_fmac_f64_e32 v[78:79], s[12:13], v[138:139]
	v_add_f64 v[68:69], v[232:233], v[68:69]
	v_mul_f64 v[226:227], v[158:159], s[34:35]
	v_fma_f64 v[232:233], s[6:7], v[126:127], v[230:231]
	v_add_f64 v[236:237], v[236:237], v[240:241]
	v_fmac_f64_e32 v[74:75], s[10:11], v[160:161]
	v_add_f64 v[68:69], v[78:79], v[68:69]
	v_mul_f64 v[78:79], v[148:149], s[28:29]
	v_fma_f64 v[228:229], s[24:25], v[168:169], v[226:227]
	v_add_f64 v[232:233], v[232:233], v[236:237]
	v_fma_f64 v[238:239], v[102:103], s[20:21], -v[238:239]
	v_add_f64 v[68:69], v[74:75], v[68:69]
	v_mul_f64 v[76:77], v[164:165], s[18:19]
	v_fma_f64 v[74:75], s[2:3], v[178:179], v[78:79]
	v_add_f64 v[228:229], v[228:229], v[232:233]
	v_mul_f64 v[244:245], v[80:81], s[22:23]
	v_fma_f64 v[234:235], v[108:109], s[10:11], -v[234:235]
	v_add_f64 v[238:239], v[22:23], v[238:239]
	v_fma_f64 v[72:73], s[12:13], v[208:209], v[76:77]
	v_add_f64 v[74:75], v[74:75], v[228:229]
	v_mul_f64 v[242:243], v[120:121], s[30:31]
	v_fma_f64 v[246:247], v[96:97], s[20:21], -v[244:245]
	v_add_f64 v[234:235], v[234:235], v[238:239]
	v_fma_f64 v[230:231], v[126:127], s[6:7], -v[230:231]
	v_add_f64 v[74:75], v[72:73], v[74:75]
	v_mul_f64 v[240:241], v[134:135], s[8:9]
	v_fma_f64 v[72:73], v[104:105], s[10:11], -v[242:243]
	v_add_f64 v[246:247], v[20:21], v[246:247]
	v_add_f64 v[230:231], v[230:231], v[234:235]
	v_fma_f64 v[226:227], v[168:169], s[24:25], -v[226:227]
	v_mul_f64 v[236:237], v[184:185], s[34:35]
	v_add_f64 v[72:73], v[72:73], v[246:247]
	v_fma_f64 v[246:247], v[114:115], s[6:7], -v[240:241]
	v_fma_f64 v[78:79], v[178:179], s[2:3], -v[78:79]
	v_add_f64 v[226:227], v[226:227], v[230:231]
	v_mul_f64 v[232:233], v[196:197], s[28:29]
	v_add_f64 v[72:73], v[246:247], v[72:73]
	v_fma_f64 v[246:247], v[140:141], s[24:25], -v[236:237]
	v_fma_f64 v[76:77], v[208:209], s[12:13], -v[76:77]
	v_add_f64 v[78:79], v[78:79], v[226:227]
	v_fmac_f64_e32 v[244:245], s[20:21], v[96:97]
	v_mul_f64 v[228:229], v[218:219], s[18:19]
	v_add_f64 v[72:73], v[246:247], v[72:73]
	v_fma_f64 v[246:247], v[138:139], s[2:3], -v[232:233]
	v_add_f64 v[78:79], v[76:77], v[78:79]
	v_fmac_f64_e32 v[242:243], s[10:11], v[104:105]
	v_add_f64 v[76:77], v[20:21], v[244:245]
	v_add_f64 v[72:73], v[246:247], v[72:73]
	v_fma_f64 v[246:247], v[160:161], s[12:13], -v[228:229]
	v_fmac_f64_e32 v[240:241], s[6:7], v[114:115]
	v_add_f64 v[76:77], v[242:243], v[76:77]
	v_mul_f64 v[244:245], v[82:83], s[18:19]
	v_mul_f64 v[200:201], v[82:83], s[8:9]
	v_add_f64 v[72:73], v[246:247], v[72:73]
	v_mul_f64 v[246:247], v[82:83], s[16:17]
	v_fmac_f64_e32 v[236:237], s[24:25], v[140:141]
	v_add_f64 v[76:77], v[240:241], v[76:77]
	v_mul_f64 v[240:241], v[116:117], s[26:27]
	v_fma_f64 v[82:83], s[12:13], v[102:103], v[244:245]
	v_add_f64 v[76:77], v[236:237], v[76:77]
	v_mul_f64 v[236:237], v[124:125], s[28:29]
	v_fma_f64 v[242:243], s[20:21], v[108:109], v[240:241]
	v_add_f64 v[82:83], v[22:23], v[82:83]
	v_mul_f64 v[234:235], v[158:159], s[16:17]
	v_add_f64 v[82:83], v[242:243], v[82:83]
	v_fma_f64 v[242:243], s[2:3], v[126:127], v[236:237]
	v_fmac_f64_e32 v[232:233], s[2:3], v[138:139]
	v_mul_f64 v[230:231], v[148:149], s[34:35]
	v_add_f64 v[82:83], v[242:243], v[82:83]
	v_fma_f64 v[242:243], s[10:11], v[168:169], v[234:235]
	v_add_f64 v[76:77], v[232:233], v[76:77]
	v_fma_f64 v[232:233], s[24:25], v[178:179], v[230:231]
	v_add_f64 v[82:83], v[242:243], v[82:83]
	v_fmac_f64_e32 v[228:229], s[12:13], v[160:161]
	v_mul_f64 v[226:227], v[164:165], s[36:37]
	v_add_f64 v[82:83], v[232:233], v[82:83]
	v_mul_f64 v[232:233], v[80:81], s[18:19]
	v_add_f64 v[76:77], v[228:229], v[76:77]
	v_fma_f64 v[228:229], s[6:7], v[208:209], v[226:227]
	v_mul_f64 v[120:121], v[120:121], s[26:27]
	v_fma_f64 v[80:81], v[96:97], s[12:13], -v[232:233]
	v_add_f64 v[82:83], v[228:229], v[82:83]
	v_mul_f64 v[134:135], v[134:135], s[28:29]
	v_fma_f64 v[228:229], v[104:105], s[20:21], -v[120:121]
	v_add_f64 v[80:81], v[20:21], v[80:81]
	v_mul_f64 v[184:185], v[184:185], s[16:17]
	v_add_f64 v[80:81], v[228:229], v[80:81]
	v_fma_f64 v[228:229], v[114:115], s[2:3], -v[134:135]
	v_fma_f64 v[102:103], v[102:103], s[12:13], -v[244:245]
	v_mul_f64 v[196:197], v[196:197], s[34:35]
	v_add_f64 v[80:81], v[228:229], v[80:81]
	v_fma_f64 v[228:229], v[140:141], s[10:11], -v[184:185]
	v_fma_f64 v[108:109], v[108:109], s[20:21], -v[240:241]
	v_add_f64 v[102:103], v[22:23], v[102:103]
	v_mul_f64 v[218:219], v[218:219], s[36:37]
	v_add_f64 v[80:81], v[228:229], v[80:81]
	v_fma_f64 v[228:229], v[138:139], s[24:25], -v[196:197]
	v_fma_f64 v[126:127], v[126:127], s[2:3], -v[236:237]
	v_add_f64 v[102:103], v[108:109], v[102:103]
	v_add_f64 v[80:81], v[228:229], v[80:81]
	v_fma_f64 v[228:229], v[160:161], s[6:7], -v[218:219]
	v_fma_f64 v[168:169], v[168:169], s[10:11], -v[234:235]
	v_add_f64 v[102:103], v[126:127], v[102:103]
	v_fmac_f64_e32 v[232:233], s[12:13], v[96:97]
	v_mul_f64 v[248:249], v[104:105], s[6:7]
	v_add_f64 v[80:81], v[228:229], v[80:81]
	v_mul_f64 v[228:229], v[104:105], s[12:13]
	v_mul_f64 v[250:251], v[104:105], s[24:25]
	v_fma_f64 v[178:179], v[178:179], s[24:25], -v[230:231]
	v_add_f64 v[102:103], v[168:169], v[102:103]
	v_fmac_f64_e32 v[120:121], s[20:21], v[104:105]
	v_add_f64 v[104:105], v[20:21], v[232:233]
	v_mul_f64 v[238:239], v[116:117], s[8:9]
	v_mul_f64 v[242:243], v[116:117], s[18:19]
	v_fma_f64 v[116:117], v[208:209], s[6:7], -v[226:227]
	v_mul_f64 v[208:209], v[114:115], s[10:11]
	v_mul_f64 v[230:231], v[114:115], s[24:25]
	;; [unrolled: 1-line block ×6, first 2 shown]
	v_add_f64 v[102:103], v[178:179], v[102:103]
	v_mul_f64 v[178:179], v[138:139], s[20:21]
	v_fmac_f64_e32 v[184:185], s[10:11], v[140:141]
	v_mul_f64 v[140:141], v[148:149], s[22:23]
	v_fmac_f64_e32 v[134:135], s[2:3], v[114:115]
	v_mul_f64 v[244:245], v[138:139], s[10:11]
	v_mul_f64 v[252:253], v[148:149], s[30:31]
	v_fmac_f64_e32 v[196:197], s[24:25], v[138:139]
	v_mul_f64 v[114:115], v[138:139], s[6:7]
	v_mul_f64 v[138:139], v[148:149], s[8:9]
	v_add_f64 v[104:105], v[120:121], v[104:105]
	v_mul_f64 v[148:149], v[164:165], s[28:29]
	v_mul_f64 v[164:165], v[164:165], s[22:23]
	;; [unrolled: 1-line block ×5, first 2 shown]
	v_add_f64 v[134:135], v[134:135], v[104:105]
	v_add_f64 v[104:105], v[116:117], v[102:103]
	v_add_f64 v[116:117], v[214:215], -v[164:165]
	v_add_f64 v[164:165], v[182:183], -v[246:247]
	v_mul_f64 v[226:227], v[124:125], s[16:17]
	v_mul_f64 v[124:125], v[124:125], s[38:39]
	v_add_f64 v[102:103], v[184:185], v[134:135]
	v_add_f64 v[134:135], v[206:207], -v[138:139]
	v_add_f64 v[138:139], v[202:203], -v[158:159]
	;; [unrolled: 1-line block ×3, first 2 shown]
	v_add_f64 v[164:165], v[22:23], v[164:165]
	v_add_f64 v[124:125], v[194:195], -v[124:125]
	v_add_f64 v[158:159], v[158:159], v[164:165]
	v_add_f64 v[124:125], v[124:125], v[158:159]
	;; [unrolled: 1-line block ×3, first 2 shown]
	v_mul_f64 v[170:171], v[96:97], s[2:3]
	v_mul_f64 v[188:189], v[96:97], s[6:7]
	;; [unrolled: 1-line block ×5, first 2 shown]
	v_fmac_f64_e32 v[218:219], s[6:7], v[160:161]
	v_mul_f64 v[160:161], v[160:161], s[20:21]
	v_add_f64 v[124:125], v[134:135], v[124:125]
	v_add_f64 v[16:17], v[20:21], v[16:17]
	;; [unrolled: 1-line block ×13, first 2 shown]
	v_add_f64 v[142:143], v[142:143], -v[200:201]
	v_add_f64 v[18:19], v[18:19], v[30:31]
	v_add_f64 v[16:17], v[16:17], v[44:45]
	v_add_f64 v[134:135], v[168:169], v[186:187]
	v_add_f64 v[138:139], v[138:139], v[158:159]
	v_add_f64 v[146:147], v[146:147], -v[242:243]
	v_add_f64 v[142:143], v[22:23], v[142:143]
	v_add_f64 v[18:19], v[18:19], v[46:47]
	v_add_f64 v[16:17], v[16:17], v[48:49]
	v_add_f64 v[134:135], v[134:135], v[138:139]
	;; [unrolled: 5-line block ×4, first 2 shown]
	v_add_f64 v[114:115], v[114:115], v[134:135]
	v_add_f64 v[134:135], v[162:163], -v[252:253]
	v_add_f64 v[126:127], v[126:127], v[138:139]
	v_add_f64 v[132:133], v[228:229], v[132:133]
	;; [unrolled: 1-line block ×3, first 2 shown]
	v_add_f64 v[90:91], v[90:91], -v[176:177]
	v_add_f64 v[88:89], v[170:171], v[88:89]
	v_add_f64 v[18:19], v[18:19], v[62:63]
	;; [unrolled: 1-line block ×6, first 2 shown]
	v_add_f64 v[94:95], v[94:95], -v[238:239]
	v_add_f64 v[90:91], v[22:23], v[90:91]
	v_add_f64 v[92:93], v[248:249], v[92:93]
	;; [unrolled: 1-line block ×6, first 2 shown]
	v_add_f64 v[124:125], v[166:167], -v[148:149]
	v_add_f64 v[108:109], v[108:109], v[144:145]
	v_add_f64 v[130:131], v[134:135], v[130:131]
	v_add_f64 v[100:101], v[100:101], -v[226:227]
	v_add_f64 v[90:91], v[94:95], v[90:91]
	v_add_f64 v[98:99], v[208:209], v[98:99]
	;; [unrolled: 1-line block ×8, first 2 shown]
	v_add_f64 v[112:113], v[112:113], -v[240:241]
	v_add_f64 v[90:91], v[100:101], v[90:91]
	v_add_f64 v[100:101], v[236:237], v[106:107]
	;; [unrolled: 1-line block ×7, first 2 shown]
	v_add_f64 v[118:119], v[118:119], -v[140:141]
	v_add_f64 v[90:91], v[112:113], v[90:91]
	v_add_f64 v[94:95], v[96:97], v[122:123]
	;; [unrolled: 1-line block ×6, first 2 shown]
	v_mul_u32_u24_e32 v16, 0xc0, v86
	v_add_f64 v[102:103], v[196:197], v[102:103]
	v_add_f64 v[124:125], v[120:121], v[108:109]
	v_add_f64 v[108:109], v[128:129], -v[204:205]
	v_add_f64 v[90:91], v[118:119], v[90:91]
	v_add_f64 v[88:89], v[96:97], v[88:89]
	;; [unrolled: 1-line block ×3, first 2 shown]
	v_add3_u32 v16, v224, v16, v225
	v_add_f64 v[102:103], v[218:219], v[102:103]
	v_add_f64 v[90:91], v[108:109], v[90:91]
	;; [unrolled: 1-line block ×3, first 2 shown]
	ds_write_b128 v16, v[12:15]
	ds_write_b128 v16, v[88:91] offset:16
	ds_write_b128 v16, v[124:127] offset:32
	;; [unrolled: 1-line block ×12, first 2 shown]
.LBB0_13:
	s_or_b64 exec, exec, s[14:15]
	v_add_u32_e32 v57, 0x5b, v86
	s_movk_i32 s2, 0x4f
	v_add_u32_e32 v20, 0x16c, v86
	v_mul_lo_u16_sdwa v63, v86, s2 dst_sel:DWORD dst_unused:UNUSED_PAD src0_sel:BYTE_0 src1_sel:DWORD
	v_mul_lo_u16_sdwa v61, v57, s2 dst_sel:DWORD dst_unused:UNUSED_PAD src0_sel:BYTE_0 src1_sel:DWORD
	s_movk_i32 s2, 0x4ec5
	v_mul_u32_u24_sdwa v21, v20, s2 dst_sel:DWORD dst_unused:UNUSED_PAD src0_sel:WORD_0 src1_sel:DWORD
	v_lshrrev_b32_e32 v96, 18, v21
	v_mul_lo_u16_e32 v21, 13, v96
	v_add_u32_e32 v58, 0xb6, v86
	v_lshrrev_b16_e32 v80, 10, v63
	v_sub_u16_e32 v20, v20, v21
	v_add_u32_e32 v56, 0x111, v86
	v_mul_lo_u16_e32 v12, 13, v80
	v_lshlrev_b32_e32 v97, 4, v20
	v_mul_u32_u24_sdwa v20, v58, s2 dst_sel:DWORD dst_unused:UNUSED_PAD src0_sel:WORD_0 src1_sel:DWORD
	v_sub_u16_e32 v12, v86, v12
	v_mov_b32_e32 v62, 4
	v_lshrrev_b16_e32 v82, 10, v61
	v_lshrrev_b32_e32 v98, 18, v20
	v_mul_u32_u24_sdwa v28, v56, s2 dst_sel:DWORD dst_unused:UNUSED_PAD src0_sel:WORD_0 src1_sel:DWORD
	v_lshlrev_b32_sdwa v81, v62, v12 dst_sel:DWORD dst_unused:UNUSED_PAD src0_sel:DWORD src1_sel:BYTE_0
	v_mul_lo_u16_e32 v12, 13, v82
	v_mul_lo_u16_e32 v20, 13, v98
	v_lshrrev_b32_e32 v100, 18, v28
	v_sub_u16_e32 v12, v57, v12
	v_sub_u16_e32 v20, v58, v20
	v_mul_lo_u16_e32 v28, 13, v100
	s_waitcnt lgkmcnt(0)
	s_barrier
	v_lshlrev_b32_sdwa v83, v62, v12 dst_sel:DWORD dst_unused:UNUSED_PAD src0_sel:DWORD src1_sel:BYTE_0
	global_load_dwordx4 v[12:15], v81, s[4:5]
	global_load_dwordx4 v[16:19], v83, s[4:5]
	v_lshlrev_b32_e32 v99, 4, v20
	global_load_dwordx4 v[20:23], v97, s[4:5]
	global_load_dwordx4 v[24:27], v99, s[4:5]
	v_sub_u16_e32 v28, v56, v28
	v_lshlrev_b32_e32 v101, 4, v28
	global_load_dwordx4 v[28:31], v101, s[4:5]
	ds_read_b128 v[32:35], v220
	ds_read_b128 v[36:39], v87 offset:1456
	ds_read_b128 v[40:43], v87 offset:8736
	;; [unrolled: 1-line block ×7, first 2 shown]
	s_movk_i32 s2, 0x1a0
	v_mad_u32_u24 v80, v80, s2, 0
	v_mad_u32_u24 v82, v82, s2, 0
	v_add3_u32 v102, v80, v81, v225
	v_lshlrev_b32_e32 v59, 4, v58
	v_add3_u32 v103, v82, v83, v225
	v_lshlrev_b32_e32 v60, 4, v56
	v_add3_u32 v59, 0, v59, v225
	v_add3_u32 v60, 0, v60, v225
	ds_read_b128 v[72:75], v59
	ds_read_b128 v[76:79], v60
	s_mov_b32 s3, 0x5040100
	s_waitcnt lgkmcnt(0)
	s_barrier
	v_cmp_gt_u32_e32 vcc, 39, v86
	s_waitcnt vmcnt(4)
	v_mul_f64 v[80:81], v[50:51], v[14:15]
	v_mul_f64 v[14:15], v[48:49], v[14:15]
	s_waitcnt vmcnt(3)
	v_mul_f64 v[82:83], v[42:43], v[18:19]
	v_mul_f64 v[18:19], v[40:41], v[18:19]
	;; [unrolled: 3-line block ×3, first 2 shown]
	v_fmac_f64_e32 v[80:81], v[48:49], v[12:13]
	v_fma_f64 v[12:13], v[50:51], v[12:13], -v[14:15]
	v_fmac_f64_e32 v[82:83], v[40:41], v[16:17]
	v_fma_f64 v[14:15], v[42:43], v[16:17], -v[18:19]
	;; [unrolled: 2-line block ×3, first 2 shown]
	v_add_f64 v[24:25], v[32:33], -v[80:81]
	v_add_f64 v[26:27], v[34:35], -v[12:13]
	s_waitcnt vmcnt(0)
	v_mul_f64 v[92:93], v[66:67], v[30:31]
	v_mul_f64 v[94:95], v[64:65], v[30:31]
	v_add_f64 v[40:41], v[36:37], -v[82:83]
	v_add_f64 v[42:43], v[38:39], -v[14:15]
	v_fma_f64 v[30:31], v[32:33], 2.0, -v[24:25]
	v_fma_f64 v[32:33], v[34:35], 2.0, -v[26:27]
	;; [unrolled: 1-line block ×4, first 2 shown]
	ds_write_b128 v102, v[30:33]
	ds_write_b128 v102, v[24:27] offset:208
	ds_write_b128 v103, v[34:37]
	ds_write_b128 v103, v[40:43] offset:208
	v_perm_b32 v24, v100, v98, s3
	v_pk_mul_lo_u16 v24, v24, s2 op_sel_hi:[1,0]
	v_add_f64 v[44:45], v[72:73], -v[90:91]
	v_and_b32_e32 v25, 0xffe0, v24
	v_add_f64 v[46:47], v[74:75], -v[46:47]
	v_add_u32_e32 v25, 0, v25
	v_mul_f64 v[88:89], v[70:71], v[22:23]
	v_mul_f64 v[22:23], v[68:69], v[22:23]
	v_fma_f64 v[48:49], v[72:73], 2.0, -v[44:45]
	v_fma_f64 v[50:51], v[74:75], 2.0, -v[46:47]
	v_add3_u32 v25, v25, v99, v225
	v_fmac_f64_e32 v[88:89], v[68:69], v[20:21]
	v_fma_f64 v[16:17], v[70:71], v[20:21], -v[22:23]
	v_fmac_f64_e32 v[92:93], v[64:65], v[28:29]
	v_fma_f64 v[14:15], v[66:67], v[28:29], -v[94:95]
	ds_write_b128 v25, v[48:51]
	ds_write_b128 v25, v[44:47] offset:208
	v_mov_b32_e32 v25, 0
	v_add_f64 v[20:21], v[52:53], -v[88:89]
	v_add_f64 v[22:23], v[54:55], -v[16:17]
	;; [unrolled: 1-line block ×4, first 2 shown]
	v_add_u32_sdwa v24, v25, v24 dst_sel:DWORD dst_unused:UNUSED_PAD src0_sel:DWORD src1_sel:WORD_1
	v_fma_f64 v[16:17], v[52:53], 2.0, -v[20:21]
	v_fma_f64 v[18:19], v[54:55], 2.0, -v[22:23]
	;; [unrolled: 1-line block ×4, first 2 shown]
	v_add3_u32 v24, v24, v101, v225
	ds_write_b128 v24, v[52:55]
	ds_write_b128 v24, v[12:15] offset:208
	v_mad_u32_u24 v24, v96, s2, 0
	v_add3_u32 v24, v24, v97, v225
	ds_write_b128 v24, v[16:19]
	ds_write_b128 v24, v[20:23] offset:208
	s_waitcnt lgkmcnt(0)
	s_barrier
	ds_read_b128 v[28:31], v220
	ds_read_b128 v[52:55], v87 offset:2080
	ds_read_b128 v[48:51], v87 offset:4160
	ds_read_b128 v[44:47], v87 offset:6240
	ds_read_b128 v[40:43], v87 offset:8320
	ds_read_b128 v[36:39], v87 offset:10400
	ds_read_b128 v[32:35], v87 offset:12480
                                        ; implicit-def: $vgpr26_vgpr27
	s_and_saveexec_b64 s[2:3], vcc
	s_cbranch_execz .LBB0_15
; %bb.14:
	ds_read_b128 v[12:15], v87 offset:1456
	ds_read_b128 v[16:19], v87 offset:3536
	;; [unrolled: 1-line block ×7, first 2 shown]
.LBB0_15:
	s_or_b64 exec, exec, s[2:3]
	v_lshrrev_b16_e32 v104, 11, v63
	v_mul_lo_u16_e32 v63, 26, v104
	v_sub_u16_e32 v105, v86, v63
	v_mov_b32_e32 v63, 6
	v_mul_u32_u24_sdwa v64, v105, v63 dst_sel:DWORD dst_unused:UNUSED_PAD src0_sel:BYTE_0 src1_sel:DWORD
	v_lshlrev_b32_e32 v92, 4, v64
	global_load_dwordx4 v[64:67], v92, s[4:5] offset:208
	global_load_dwordx4 v[68:71], v92, s[4:5] offset:224
	global_load_dwordx4 v[72:75], v92, s[4:5] offset:240
	global_load_dwordx4 v[76:79], v92, s[4:5] offset:256
	global_load_dwordx4 v[80:83], v92, s[4:5] offset:272
	global_load_dwordx4 v[88:91], v92, s[4:5] offset:288
	s_mov_b32 s6, 0x37e14327
	s_mov_b32 s8, 0x36b3c0b5
	;; [unrolled: 1-line block ×20, first 2 shown]
	s_movk_i32 s26, 0xb60
	v_lshlrev_b32_sdwa v62, v62, v105 dst_sel:DWORD dst_unused:UNUSED_PAD src0_sel:DWORD src1_sel:BYTE_0
	s_waitcnt lgkmcnt(0)
	s_barrier
	s_waitcnt vmcnt(5)
	v_mul_f64 v[92:93], v[54:55], v[66:67]
	v_mul_f64 v[66:67], v[52:53], v[66:67]
	s_waitcnt vmcnt(4)
	v_mul_f64 v[94:95], v[50:51], v[70:71]
	v_mul_f64 v[70:71], v[48:49], v[70:71]
	;; [unrolled: 3-line block ×4, first 2 shown]
	v_mul_f64 v[96:97], v[46:47], v[74:75]
	v_mul_f64 v[74:75], v[44:45], v[74:75]
	;; [unrolled: 1-line block ×4, first 2 shown]
	v_fmac_f64_e32 v[92:93], v[52:53], v[64:65]
	v_fma_f64 v[52:53], v[54:55], v[64:65], -v[66:67]
	v_fmac_f64_e32 v[94:95], v[48:49], v[68:69]
	v_fma_f64 v[48:49], v[50:51], v[68:69], -v[70:71]
	;; [unrolled: 2-line block ×6, first 2 shown]
	v_add_f64 v[34:35], v[92:93], v[102:103]
	v_add_f64 v[38:39], v[52:53], v[32:33]
	;; [unrolled: 1-line block ×4, first 2 shown]
	v_add_f64 v[36:37], v[48:49], -v[36:37]
	v_add_f64 v[48:49], v[96:97], v[98:99]
	v_add_f64 v[54:55], v[44:45], v[40:41]
	v_add_f64 v[40:41], v[40:41], -v[44:45]
	v_add_f64 v[44:45], v[46:47], v[34:35]
	v_add_f64 v[66:67], v[50:51], v[38:39]
	v_add_f64 v[42:43], v[92:93], -v[102:103]
	v_add_f64 v[32:33], v[52:53], -v[32:33]
	;; [unrolled: 1-line block ×7, first 2 shown]
	v_add_f64 v[44:45], v[48:49], v[44:45]
	v_add_f64 v[48:49], v[54:55], v[66:67]
	v_add_f64 v[70:71], v[50:51], -v[38:39]
	v_add_f64 v[38:39], v[38:39], -v[54:55]
	;; [unrolled: 1-line block ×3, first 2 shown]
	v_add_f64 v[72:73], v[64:65], v[52:53]
	v_add_f64 v[76:77], v[64:65], -v[52:53]
	v_add_f64 v[52:53], v[52:53], -v[42:43]
	v_add_f64 v[28:29], v[28:29], v[44:45]
	v_add_f64 v[30:31], v[30:31], v[48:49]
	v_add_f64 v[64:65], v[42:43], -v[64:65]
	v_add_f64 v[42:43], v[72:73], v[42:43]
	v_mul_f64 v[34:35], v[34:35], s[6:7]
	v_mul_f64 v[38:39], v[38:39], s[6:7]
	;; [unrolled: 1-line block ×6, first 2 shown]
	v_mov_b64_e32 v[80:81], v[28:29]
	v_mov_b64_e32 v[82:83], v[30:31]
	v_add_f64 v[74:75], v[40:41], v[36:37]
	v_add_f64 v[78:79], v[40:41], -v[36:37]
	v_add_f64 v[36:37], v[36:37], -v[32:33]
	v_fmac_f64_e32 v[80:81], s[10:11], v[44:45]
	v_fmac_f64_e32 v[82:83], s[10:11], v[48:49]
	v_fma_f64 v[44:45], v[68:69], s[14:15], -v[54:55]
	v_fma_f64 v[48:49], v[70:71], s[14:15], -v[66:67]
	;; [unrolled: 1-line block ×3, first 2 shown]
	v_fmac_f64_e32 v[34:35], s[8:9], v[46:47]
	v_fma_f64 v[46:47], v[70:71], s[18:19], -v[38:39]
	v_fmac_f64_e32 v[38:39], s[8:9], v[50:51]
	v_fma_f64 v[50:51], v[52:53], s[2:3], -v[72:73]
	;; [unrolled: 2-line block ×3, first 2 shown]
	v_add_f64 v[40:41], v[32:33], -v[40:41]
	v_add_f64 v[32:33], v[74:75], v[32:33]
	v_mul_f64 v[74:75], v[78:79], s[12:13]
	v_mul_f64 v[78:79], v[36:37], s[2:3]
	v_add_f64 v[48:49], v[48:49], v[82:83]
	v_add_f64 v[76:77], v[46:47], v[82:83]
	v_fmac_f64_e32 v[50:51], s[16:17], v[42:43]
	v_fmac_f64_e32 v[64:65], s[16:17], v[42:43]
	v_fma_f64 v[52:53], v[36:37], s[2:3], -v[74:75]
	v_fmac_f64_e32 v[74:75], s[22:23], v[40:41]
	v_fma_f64 v[66:67], v[40:41], s[20:21], -v[78:79]
	v_add_f64 v[70:71], v[38:39], v[82:83]
	v_fmac_f64_e32 v[72:73], s[16:17], v[42:43]
	v_add_f64 v[38:39], v[76:77], -v[64:65]
	v_add_f64 v[42:43], v[50:51], v[48:49]
	v_add_f64 v[46:47], v[48:49], -v[50:51]
	v_add_f64 v[50:51], v[64:65], v[76:77]
	v_mad_u32_u24 v64, v104, s26, 0
	v_add_f64 v[68:69], v[34:35], v[80:81]
	v_add_f64 v[44:45], v[44:45], v[80:81]
	;; [unrolled: 1-line block ×3, first 2 shown]
	v_fmac_f64_e32 v[74:75], s[16:17], v[32:33]
	v_fmac_f64_e32 v[52:53], s[16:17], v[32:33]
	;; [unrolled: 1-line block ×3, first 2 shown]
	v_add3_u32 v62, v64, v62, v225
	v_add_f64 v[32:33], v[74:75], v[68:69]
	v_add_f64 v[34:35], v[70:71], -v[72:73]
	v_add_f64 v[36:37], v[66:67], v[54:55]
	v_add_f64 v[40:41], v[44:45], -v[52:53]
	;; [unrolled: 2-line block ×3, first 2 shown]
	v_add_f64 v[52:53], v[68:69], -v[74:75]
	v_add_f64 v[54:55], v[72:73], v[70:71]
	ds_write_b128 v62, v[28:31]
	ds_write_b128 v62, v[32:35] offset:416
	ds_write_b128 v62, v[36:39] offset:832
	;; [unrolled: 1-line block ×6, first 2 shown]
	s_and_saveexec_b64 s[24:25], vcc
	s_cbranch_execz .LBB0_17
; %bb.16:
	v_lshrrev_b16_e32 v61, 11, v61
	v_mul_lo_u16_e32 v28, 26, v61
	v_sub_u16_e32 v70, v57, v28
	v_mul_u32_u24_sdwa v28, v70, v63 dst_sel:DWORD dst_unused:UNUSED_PAD src0_sel:BYTE_0 src1_sel:DWORD
	v_lshlrev_b32_e32 v52, 4, v28
	global_load_dwordx4 v[28:31], v52, s[4:5] offset:256
	global_load_dwordx4 v[32:35], v52, s[4:5] offset:240
	;; [unrolled: 1-line block ×6, first 2 shown]
	s_waitcnt vmcnt(5)
	v_mul_f64 v[52:53], v[6:7], v[30:31]
	s_waitcnt vmcnt(4)
	v_mul_f64 v[54:55], v[10:11], v[34:35]
	;; [unrolled: 2-line block ×6, first 2 shown]
	v_mul_f64 v[34:35], v[8:9], v[34:35]
	v_mul_f64 v[30:31], v[4:5], v[30:31]
	;; [unrolled: 1-line block ×6, first 2 shown]
	v_fmac_f64_e32 v[52:53], v[4:5], v[28:29]
	v_fmac_f64_e32 v[54:55], v[8:9], v[32:33]
	v_fmac_f64_e32 v[62:63], v[20:21], v[36:37]
	v_fmac_f64_e32 v[64:65], v[0:1], v[40:41]
	v_fmac_f64_e32 v[66:67], v[16:17], v[44:45]
	v_fmac_f64_e32 v[68:69], v[24:25], v[48:49]
	v_fma_f64 v[0:1], v[10:11], v[32:33], -v[34:35]
	v_fma_f64 v[4:5], v[6:7], v[28:29], -v[30:31]
	;; [unrolled: 1-line block ×6, first 2 shown]
	v_add_f64 v[16:17], v[52:53], -v[54:55]
	v_add_f64 v[18:19], v[62:63], -v[64:65]
	;; [unrolled: 1-line block ×3, first 2 shown]
	v_add_f64 v[22:23], v[0:1], v[4:5]
	v_add_f64 v[24:25], v[6:7], v[2:3]
	;; [unrolled: 1-line block ×6, first 2 shown]
	v_add_f64 v[0:1], v[4:5], -v[0:1]
	v_add_f64 v[34:35], v[6:7], -v[2:3]
	v_add_f64 v[2:3], v[16:17], v[18:19]
	v_add_f64 v[4:5], v[16:17], -v[18:19]
	v_add_f64 v[6:7], v[20:21], -v[16:17]
	;; [unrolled: 1-line block ×3, first 2 shown]
	v_add_f64 v[36:37], v[24:25], v[26:27]
	v_add_f64 v[42:43], v[30:31], v[32:33]
	v_add_f64 v[8:9], v[8:9], -v[10:11]
	v_add_f64 v[10:11], v[22:23], -v[24:25]
	;; [unrolled: 1-line block ×6, first 2 shown]
	v_mul_f64 v[30:31], v[4:5], s[12:13]
	v_mul_f64 v[4:5], v[16:17], s[6:7]
	v_add_f64 v[16:17], v[22:23], v[36:37]
	v_add_f64 v[28:29], v[28:29], v[42:43]
	;; [unrolled: 1-line block ×3, first 2 shown]
	v_add_f64 v[46:47], v[0:1], -v[34:35]
	v_add_f64 v[48:49], v[8:9], -v[0:1]
	;; [unrolled: 1-line block ×3, first 2 shown]
	v_add_f64 v[20:21], v[2:3], v[20:21]
	v_mul_f64 v[36:37], v[40:41], s[6:7]
	v_add_f64 v[2:3], v[14:15], v[16:17]
	v_add_f64 v[0:1], v[12:13], v[28:29]
	v_fma_f64 v[14:15], s[8:9], v[38:39], v[36:37]
	v_fma_f64 v[12:13], v[26:27], s[18:19], -v[36:37]
	v_mov_b64_e32 v[36:37], v[2:3]
	v_mov_b64_e32 v[50:51], v[0:1]
	v_mul_f64 v[32:33], v[10:11], s[8:9]
	v_add_f64 v[40:41], v[44:45], v[8:9]
	v_mul_f64 v[42:43], v[46:47], s[12:13]
	v_mul_f64 v[44:45], v[18:19], s[2:3]
	v_fma_f64 v[46:47], s[22:23], v[6:7], v[30:31]
	v_fma_f64 v[10:11], s[8:9], v[10:11], v[4:5]
	v_fmac_f64_e32 v[36:37], s[10:11], v[16:17]
	v_fmac_f64_e32 v[50:51], s[10:11], v[28:29]
	v_mul_f64 v[22:23], v[38:39], s[8:9]
	v_fma_f64 v[44:45], v[6:7], s[20:21], -v[44:45]
	v_fmac_f64_e32 v[46:47], s[16:17], v[20:21]
	v_add_f64 v[28:29], v[10:11], v[36:37]
	v_add_f64 v[62:63], v[12:13], v[50:51]
	v_add_f64 v[12:13], v[34:35], -v[8:9]
	v_fma_f64 v[18:19], v[18:19], s[2:3], -v[30:31]
	v_fmac_f64_e32 v[44:45], s[16:17], v[20:21]
	v_add_f64 v[6:7], v[46:47], v[28:29]
	v_mul_f64 v[8:9], v[12:13], s[2:3]
	v_fmac_f64_e32 v[18:19], s[16:17], v[20:21]
	v_fma_f64 v[20:21], v[12:13], s[2:3], -v[42:43]
	v_fma_f64 v[12:13], v[26:27], s[14:15], -v[22:23]
	v_add_f64 v[26:27], v[28:29], -v[46:47]
	v_mov_b32_e32 v29, 4
	v_fma_f64 v[38:39], s[22:23], v[48:49], v[42:43]
	v_fma_f64 v[4:5], v[24:25], s[18:19], -v[4:5]
	v_add_f64 v[52:53], v[14:15], v[50:51]
	v_fma_f64 v[34:35], v[48:49], s[20:21], -v[8:9]
	v_fma_f64 v[14:15], v[24:25], s[14:15], -v[32:33]
	v_mad_u32_u24 v28, v61, s26, 0
	v_lshlrev_b32_sdwa v29, v29, v70 dst_sel:DWORD dst_unused:UNUSED_PAD src0_sel:DWORD src1_sel:BYTE_0
	v_fmac_f64_e32 v[38:39], s[16:17], v[40:41]
	v_add_f64 v[54:55], v[4:5], v[36:37]
	v_fmac_f64_e32 v[34:35], s[16:17], v[40:41]
	v_add_f64 v[16:17], v[14:15], v[36:37]
	;; [unrolled: 2-line block ×3, first 2 shown]
	v_add3_u32 v28, v28, v29, v225
	v_add_f64 v[4:5], v[52:53], -v[38:39]
	v_add_f64 v[10:11], v[44:45], v[54:55]
	v_add_f64 v[8:9], v[62:63], -v[34:35]
	v_add_f64 v[14:15], v[16:17], -v[18:19]
	v_add_f64 v[12:13], v[20:21], v[22:23]
	v_add_f64 v[18:19], v[18:19], v[16:17]
	v_add_f64 v[16:17], v[22:23], -v[20:21]
	v_add_f64 v[22:23], v[54:55], -v[44:45]
	v_add_f64 v[20:21], v[34:35], v[62:63]
	v_add_f64 v[24:25], v[38:39], v[52:53]
	ds_write_b128 v28, v[0:3]
	ds_write_b128 v28, v[24:27] offset:416
	ds_write_b128 v28, v[20:23] offset:832
	;; [unrolled: 1-line block ×6, first 2 shown]
.LBB0_17:
	s_or_b64 exec, exec, s[24:25]
	v_lshlrev_b32_e32 v8, 2, v86
	v_mov_b32_e32 v9, 0
	v_lshl_add_u64 v[0:1], v[8:9], 4, s[4:5]
	v_lshlrev_b32_e32 v8, 2, v57
	s_waitcnt lgkmcnt(0)
	s_barrier
	global_load_dwordx4 v[10:13], v[0:1], off offset:2704
	global_load_dwordx4 v[14:17], v[0:1], off offset:2720
	global_load_dwordx4 v[18:21], v[0:1], off offset:2736
	global_load_dwordx4 v[22:25], v[0:1], off offset:2752
	v_lshl_add_u64 v[0:1], v[8:9], 4, s[4:5]
	global_load_dwordx4 v[26:29], v[0:1], off offset:2704
	global_load_dwordx4 v[30:33], v[0:1], off offset:2720
	;; [unrolled: 1-line block ×4, first 2 shown]
	ds_read_b128 v[4:7], v220
	ds_read_b128 v[0:3], v87 offset:1456
	ds_read_b128 v[42:45], v59
	ds_read_b128 v[46:49], v60
	ds_read_b128 v[50:53], v87 offset:5824
	ds_read_b128 v[60:63], v87 offset:7280
	;; [unrolled: 1-line block ×6, first 2 shown]
	s_mov_b32 s6, 0x134454ff
	s_mov_b32 s7, 0xbfee6f0e
	;; [unrolled: 1-line block ×10, first 2 shown]
	v_lshl_add_u32 v8, v223, 4, v224
	s_waitcnt lgkmcnt(0)
	s_barrier
	v_cmp_ne_u32_e32 vcc, 0, v86
	s_waitcnt vmcnt(7)
	v_mul_f64 v[54:55], v[44:45], v[12:13]
	v_mul_f64 v[12:13], v[42:43], v[12:13]
	s_waitcnt vmcnt(6)
	v_mul_f64 v[80:81], v[52:53], v[16:17]
	s_waitcnt vmcnt(5)
	v_mul_f64 v[82:83], v[66:67], v[20:21]
	v_mul_f64 v[16:17], v[50:51], v[16:17]
	;; [unrolled: 1-line block ×3, first 2 shown]
	s_waitcnt vmcnt(4)
	v_mul_f64 v[88:89], v[74:75], v[24:25]
	v_mul_f64 v[24:25], v[72:73], v[24:25]
	v_fmac_f64_e32 v[54:55], v[42:43], v[10:11]
	v_fma_f64 v[42:43], v[44:45], v[10:11], -v[12:13]
	v_fmac_f64_e32 v[80:81], v[50:51], v[14:15]
	v_fmac_f64_e32 v[82:83], v[64:65], v[18:19]
	s_waitcnt vmcnt(3)
	v_mul_f64 v[64:65], v[48:49], v[28:29]
	v_mul_f64 v[10:11], v[46:47], v[28:29]
	s_waitcnt vmcnt(2)
	v_mul_f64 v[12:13], v[60:61], v[32:33]
	v_fma_f64 v[44:45], v[52:53], v[14:15], -v[16:17]
	v_fma_f64 v[50:51], v[66:67], v[18:19], -v[20:21]
	v_fmac_f64_e32 v[88:89], v[72:73], v[22:23]
	v_fma_f64 v[52:53], v[74:75], v[22:23], -v[24:25]
	v_mul_f64 v[66:67], v[62:63], v[32:33]
	s_waitcnt vmcnt(1)
	v_mul_f64 v[14:15], v[68:69], v[36:37]
	s_waitcnt vmcnt(0)
	v_mul_f64 v[16:17], v[76:77], v[40:41]
	v_fmac_f64_e32 v[64:65], v[46:47], v[26:27]
	v_fma_f64 v[46:47], v[48:49], v[26:27], -v[10:11]
	v_fma_f64 v[48:49], v[62:63], v[30:31], -v[12:13]
	v_add_f64 v[10:11], v[4:5], v[54:55]
	v_add_f64 v[12:13], v[80:81], v[82:83]
	v_fmac_f64_e32 v[66:67], v[60:61], v[30:31]
	v_fma_f64 v[60:61], v[70:71], v[34:35], -v[14:15]
	v_fma_f64 v[62:63], v[78:79], v[38:39], -v[16:17]
	v_add_f64 v[16:17], v[42:43], -v[52:53]
	v_add_f64 v[14:15], v[54:55], -v[80:81]
	;; [unrolled: 1-line block ×3, first 2 shown]
	v_add_f64 v[24:25], v[10:11], v[80:81]
	v_fma_f64 v[10:11], -0.5, v[12:13], v[4:5]
	v_add_f64 v[20:21], v[44:45], -v[50:51]
	v_add_f64 v[22:23], v[54:55], v[88:89]
	v_add_f64 v[12:13], v[14:15], v[18:19]
	v_fma_f64 v[14:15], s[6:7], v[16:17], v[10:11]
	v_fmac_f64_e32 v[10:11], s[10:11], v[16:17]
	v_fmac_f64_e32 v[4:5], -0.5, v[22:23]
	v_fmac_f64_e32 v[14:15], s[2:3], v[20:21]
	v_fmac_f64_e32 v[10:11], s[12:13], v[20:21]
	v_add_f64 v[22:23], v[24:25], v[82:83]
	v_fma_f64 v[18:19], s[10:11], v[20:21], v[4:5]
	v_fmac_f64_e32 v[14:15], s[8:9], v[12:13]
	v_fmac_f64_e32 v[10:11], s[8:9], v[12:13]
	v_add_f64 v[12:13], v[80:81], -v[54:55]
	v_add_f64 v[24:25], v[82:83], -v[88:89]
	v_fmac_f64_e32 v[4:5], s[6:7], v[20:21]
	v_fmac_f64_e32 v[18:19], s[2:3], v[16:17]
	v_add_f64 v[12:13], v[12:13], v[24:25]
	v_fmac_f64_e32 v[4:5], s[12:13], v[16:17]
	v_fmac_f64_e32 v[18:19], s[8:9], v[12:13]
	;; [unrolled: 1-line block ×3, first 2 shown]
	v_add_f64 v[12:13], v[6:7], v[42:43]
	v_add_f64 v[12:13], v[12:13], v[44:45]
	;; [unrolled: 1-line block ×5, first 2 shown]
	v_fma_f64 v[12:13], -0.5, v[12:13], v[6:7]
	v_add_f64 v[26:27], v[54:55], -v[88:89]
	v_fma_f64 v[16:17], s[10:11], v[26:27], v[12:13]
	v_add_f64 v[28:29], v[80:81], -v[82:83]
	v_add_f64 v[20:21], v[42:43], -v[44:45]
	;; [unrolled: 1-line block ×3, first 2 shown]
	v_fmac_f64_e32 v[12:13], s[6:7], v[26:27]
	v_fmac_f64_e32 v[16:17], s[12:13], v[28:29]
	v_add_f64 v[20:21], v[20:21], v[30:31]
	v_fmac_f64_e32 v[12:13], s[2:3], v[28:29]
	v_fmac_f64_e32 v[16:17], s[8:9], v[20:21]
	;; [unrolled: 1-line block ×3, first 2 shown]
	v_add_f64 v[20:21], v[42:43], v[52:53]
	v_mul_f64 v[72:73], v[70:71], v[36:37]
	v_fmac_f64_e32 v[6:7], -0.5, v[20:21]
	v_fmac_f64_e32 v[72:73], v[68:69], v[34:35]
	v_fma_f64 v[20:21], s[6:7], v[28:29], v[6:7]
	v_add_f64 v[30:31], v[44:45], -v[42:43]
	v_add_f64 v[32:33], v[50:51], -v[52:53]
	v_fmac_f64_e32 v[6:7], s[10:11], v[28:29]
	v_mul_f64 v[36:37], v[78:79], v[40:41]
	v_fmac_f64_e32 v[20:21], s[12:13], v[26:27]
	v_add_f64 v[30:31], v[30:31], v[32:33]
	v_fmac_f64_e32 v[6:7], s[2:3], v[26:27]
	v_add_f64 v[28:29], v[66:67], v[72:73]
	v_fmac_f64_e32 v[36:37], v[76:77], v[38:39]
	v_fmac_f64_e32 v[20:21], s[8:9], v[30:31]
	;; [unrolled: 1-line block ×3, first 2 shown]
	v_fma_f64 v[30:31], -0.5, v[28:29], v[0:1]
	v_add_f64 v[28:29], v[46:47], -v[62:63]
	v_fma_f64 v[34:35], s[6:7], v[28:29], v[30:31]
	v_add_f64 v[32:33], v[48:49], -v[60:61]
	v_add_f64 v[38:39], v[64:65], -v[66:67]
	v_add_f64 v[40:41], v[36:37], -v[72:73]
	v_fmac_f64_e32 v[30:31], s[10:11], v[28:29]
	v_fmac_f64_e32 v[34:35], s[2:3], v[32:33]
	v_add_f64 v[38:39], v[38:39], v[40:41]
	v_fmac_f64_e32 v[30:31], s[12:13], v[32:33]
	v_fmac_f64_e32 v[34:35], s[8:9], v[38:39]
	;; [unrolled: 1-line block ×3, first 2 shown]
	v_add_f64 v[38:39], v[64:65], v[36:37]
	v_add_f64 v[26:27], v[0:1], v[64:65]
	v_fmac_f64_e32 v[0:1], -0.5, v[38:39]
	v_add_f64 v[26:27], v[26:27], v[66:67]
	v_fma_f64 v[38:39], s[10:11], v[32:33], v[0:1]
	v_add_f64 v[40:41], v[66:67], -v[64:65]
	v_add_f64 v[42:43], v[72:73], -v[36:37]
	v_fmac_f64_e32 v[0:1], s[6:7], v[32:33]
	v_add_f64 v[32:33], v[48:49], v[60:61]
	v_add_f64 v[26:27], v[26:27], v[72:73]
	v_fmac_f64_e32 v[38:39], s[2:3], v[28:29]
	v_add_f64 v[40:41], v[40:41], v[42:43]
	v_fmac_f64_e32 v[0:1], s[12:13], v[28:29]
	v_fma_f64 v[32:33], -0.5, v[32:33], v[2:3]
	v_add_f64 v[42:43], v[64:65], -v[36:37]
	v_add_f64 v[26:27], v[26:27], v[36:37]
	v_fmac_f64_e32 v[38:39], s[8:9], v[40:41]
	v_fmac_f64_e32 v[0:1], s[8:9], v[40:41]
	v_fma_f64 v[36:37], s[10:11], v[42:43], v[32:33]
	v_add_f64 v[44:45], v[66:67], -v[72:73]
	v_add_f64 v[40:41], v[46:47], -v[48:49]
	;; [unrolled: 1-line block ×3, first 2 shown]
	v_fmac_f64_e32 v[32:33], s[6:7], v[42:43]
	v_fmac_f64_e32 v[36:37], s[12:13], v[44:45]
	v_add_f64 v[40:41], v[40:41], v[50:51]
	v_fmac_f64_e32 v[32:33], s[2:3], v[44:45]
	v_fmac_f64_e32 v[36:37], s[8:9], v[40:41]
	;; [unrolled: 1-line block ×3, first 2 shown]
	v_add_f64 v[40:41], v[46:47], v[62:63]
	v_add_f64 v[28:29], v[2:3], v[46:47]
	v_fmac_f64_e32 v[2:3], -0.5, v[40:41]
	v_add_f64 v[28:29], v[28:29], v[48:49]
	v_fma_f64 v[40:41], s[6:7], v[44:45], v[2:3]
	v_add_f64 v[46:47], v[48:49], -v[46:47]
	v_add_f64 v[48:49], v[60:61], -v[62:63]
	v_fmac_f64_e32 v[2:3], s[10:11], v[44:45]
	v_add_f64 v[22:23], v[22:23], v[88:89]
	v_add_f64 v[28:29], v[28:29], v[60:61]
	v_fmac_f64_e32 v[40:41], s[12:13], v[42:43]
	v_add_f64 v[46:47], v[46:47], v[48:49]
	v_fmac_f64_e32 v[2:3], s[2:3], v[42:43]
	;; [unrolled: 2-line block ×3, first 2 shown]
	v_fmac_f64_e32 v[2:3], s[8:9], v[46:47]
	ds_write_b128 v87, v[22:25]
	ds_write_b128 v87, v[14:17] offset:2912
	ds_write_b128 v87, v[18:21] offset:5824
	;; [unrolled: 1-line block ×9, first 2 shown]
	s_waitcnt lgkmcnt(0)
	s_barrier
	ds_read_b128 v[4:7], v220
	s_add_u32 s2, s4, 0x3810
	s_addc_u32 s3, s5, 0
	v_sub_u32_e32 v8, v221, v222
                                        ; implicit-def: $vgpr0_vgpr1
                                        ; implicit-def: $vgpr12_vgpr13
                                        ; implicit-def: $vgpr14_vgpr15
                                        ; implicit-def: $vgpr10_vgpr11
	s_and_saveexec_b64 s[4:5], vcc
	s_xor_b64 s[4:5], exec, s[4:5]
	s_cbranch_execz .LBB0_19
; %bb.18:
	v_mov_b32_e32 v87, v9
	v_lshl_add_u64 v[0:1], v[86:87], 4, s[2:3]
	global_load_dwordx4 v[0:3], v[0:1], off
	ds_read_b128 v[10:13], v8 offset:14560
	s_waitcnt lgkmcnt(0)
	v_add_f64 v[16:17], v[4:5], v[10:11]
	v_add_f64 v[4:5], v[4:5], -v[10:11]
	v_add_f64 v[14:15], v[6:7], v[12:13]
	v_add_f64 v[6:7], v[6:7], -v[12:13]
	v_mul_f64 v[4:5], v[4:5], 0.5
	v_mul_f64 v[10:11], v[14:15], 0.5
	;; [unrolled: 1-line block ×3, first 2 shown]
	s_waitcnt vmcnt(0)
	v_mul_f64 v[18:19], v[4:5], v[2:3]
	v_fma_f64 v[14:15], v[10:11], v[2:3], v[6:7]
	v_fma_f64 v[2:3], v[10:11], v[2:3], -v[6:7]
	v_fma_f64 v[12:13], 0.5, v[16:17], v[18:19]
	v_fma_f64 v[6:7], v[16:17], 0.5, -v[18:19]
	v_fma_f64 v[14:15], -v[0:1], v[4:5], v[14:15]
	v_fma_f64 v[2:3], -v[0:1], v[4:5], v[2:3]
	v_fmac_f64_e32 v[12:13], v[10:11], v[0:1]
	v_fma_f64 v[0:1], -v[10:11], v[0:1], v[6:7]
	v_mov_b64_e32 v[10:11], v[86:87]
                                        ; implicit-def: $vgpr4_vgpr5
.LBB0_19:
	s_andn2_saveexec_b64 s[4:5], s[4:5]
	s_cbranch_execz .LBB0_21
; %bb.20:
	ds_read_b64 v[2:3], v221 offset:7288
	v_mov_b64_e32 v[14:15], 0
	s_waitcnt lgkmcnt(1)
	v_add_f64 v[12:13], v[4:5], v[6:7]
	v_add_f64 v[0:1], v[4:5], -v[6:7]
	v_mov_b64_e32 v[10:11], 0
	s_waitcnt lgkmcnt(0)
	v_xor_b32_e32 v3, 0x80000000, v3
	ds_write_b64 v221, v[2:3] offset:7288
	v_mov_b64_e32 v[2:3], v[14:15]
.LBB0_21:
	s_or_b64 exec, exec, s[4:5]
	v_lshl_add_u64 v[24:25], v[10:11], 4, s[2:3]
	s_waitcnt lgkmcnt(0)
	global_load_dwordx4 v[4:7], v[24:25], off offset:1456
	v_mov_b32_e32 v59, 0
	v_lshl_add_u64 v[16:17], v[58:59], 4, s[2:3]
	global_load_dwordx4 v[16:19], v[16:17], off
	v_mov_b32_e32 v57, v59
	v_lshl_add_u64 v[20:21], v[56:57], 4, s[2:3]
	global_load_dwordx4 v[20:23], v[20:21], off
	s_movk_i32 s2, 0x1000
	v_add_co_u32_e32 v24, vcc, s2, v24
	ds_write2_b64 v220, v[12:13], v[14:15] offset1:1
	ds_write_b128 v8, v[0:3] offset:14560
	v_addc_co_u32_e32 v25, vcc, 0, v25, vcc
	ds_read_b128 v[0:3], v220 offset:1456
	ds_read_b128 v[12:15], v8 offset:13104
	global_load_dwordx4 v[24:27], v[24:25], off offset:1728
	v_lshl_add_u32 v9, v58, 4, v221
	s_waitcnt lgkmcnt(0)
	v_add_f64 v[28:29], v[0:1], v[12:13]
	v_add_f64 v[0:1], v[0:1], -v[12:13]
	v_add_f64 v[30:31], v[2:3], v[14:15]
	v_add_f64 v[2:3], v[2:3], -v[14:15]
	v_mul_f64 v[0:1], v[0:1], 0.5
	v_mul_f64 v[12:13], v[30:31], 0.5
	;; [unrolled: 1-line block ×3, first 2 shown]
	s_waitcnt vmcnt(3)
	v_mul_f64 v[14:15], v[0:1], v[6:7]
	v_fma_f64 v[30:31], v[12:13], v[6:7], v[2:3]
	v_fma_f64 v[2:3], v[12:13], v[6:7], -v[2:3]
	v_fma_f64 v[6:7], 0.5, v[28:29], v[14:15]
	v_fma_f64 v[30:31], -v[4:5], v[0:1], v[30:31]
	v_fma_f64 v[14:15], v[28:29], 0.5, -v[14:15]
	v_fmac_f64_e32 v[6:7], v[12:13], v[4:5]
	v_fma_f64 v[2:3], -v[4:5], v[0:1], v[2:3]
	v_fma_f64 v[0:1], -v[12:13], v[4:5], v[14:15]
	ds_write2_b64 v220, v[6:7], v[30:31] offset0:182 offset1:183
	ds_write_b128 v8, v[0:3] offset:13104
	ds_read_b128 v[0:3], v9
	ds_read_b128 v[4:7], v8 offset:11648
	v_lshl_add_u32 v28, v56, 4, v221
	s_waitcnt lgkmcnt(0)
	v_add_f64 v[12:13], v[0:1], v[4:5]
	v_add_f64 v[0:1], v[0:1], -v[4:5]
	v_add_f64 v[14:15], v[2:3], v[6:7]
	v_add_f64 v[2:3], v[2:3], -v[6:7]
	v_mul_f64 v[0:1], v[0:1], 0.5
	v_mul_f64 v[4:5], v[14:15], 0.5
	;; [unrolled: 1-line block ×3, first 2 shown]
	s_waitcnt vmcnt(2)
	v_mul_f64 v[6:7], v[0:1], v[18:19]
	v_fma_f64 v[14:15], v[4:5], v[18:19], v[2:3]
	v_fma_f64 v[2:3], v[4:5], v[18:19], -v[2:3]
	v_fma_f64 v[18:19], 0.5, v[12:13], v[6:7]
	v_fma_f64 v[14:15], -v[16:17], v[0:1], v[14:15]
	v_fma_f64 v[6:7], v[12:13], 0.5, -v[6:7]
	v_fmac_f64_e32 v[18:19], v[4:5], v[16:17]
	v_fma_f64 v[2:3], -v[16:17], v[0:1], v[2:3]
	v_fma_f64 v[0:1], -v[4:5], v[16:17], v[6:7]
	ds_write2_b64 v9, v[18:19], v[14:15] offset1:1
	ds_write_b128 v8, v[0:3] offset:11648
	ds_read_b128 v[0:3], v28
	ds_read_b128 v[4:7], v8 offset:10192
	v_add_u32_e32 v9, 0x1000, v220
	s_waitcnt lgkmcnt(0)
	v_add_f64 v[12:13], v[0:1], v[4:5]
	v_add_f64 v[0:1], v[0:1], -v[4:5]
	v_add_f64 v[14:15], v[2:3], v[6:7]
	v_add_f64 v[2:3], v[2:3], -v[6:7]
	v_mul_f64 v[0:1], v[0:1], 0.5
	v_mul_f64 v[4:5], v[14:15], 0.5
	v_mul_f64 v[2:3], v[2:3], 0.5
	s_waitcnt vmcnt(1)
	v_mul_f64 v[6:7], v[0:1], v[22:23]
	v_fma_f64 v[14:15], v[4:5], v[22:23], v[2:3]
	v_fma_f64 v[16:17], 0.5, v[12:13], v[6:7]
	v_fma_f64 v[2:3], v[4:5], v[22:23], -v[2:3]
	v_fma_f64 v[14:15], -v[20:21], v[0:1], v[14:15]
	v_fma_f64 v[6:7], v[12:13], 0.5, -v[6:7]
	v_fmac_f64_e32 v[16:17], v[4:5], v[20:21]
	v_fma_f64 v[2:3], -v[20:21], v[0:1], v[2:3]
	v_fma_f64 v[0:1], -v[4:5], v[20:21], v[6:7]
	ds_write2_b64 v28, v[16:17], v[14:15] offset1:1
	ds_write_b128 v8, v[0:3] offset:10192
	ds_read_b128 v[0:3], v220 offset:5824
	ds_read_b128 v[4:7], v8 offset:8736
	s_waitcnt lgkmcnt(0)
	v_add_f64 v[12:13], v[0:1], v[4:5]
	v_add_f64 v[0:1], v[0:1], -v[4:5]
	v_add_f64 v[14:15], v[2:3], v[6:7]
	v_add_f64 v[2:3], v[2:3], -v[6:7]
	v_mul_f64 v[0:1], v[0:1], 0.5
	v_mul_f64 v[4:5], v[14:15], 0.5
	;; [unrolled: 1-line block ×3, first 2 shown]
	s_waitcnt vmcnt(0)
	v_mul_f64 v[6:7], v[0:1], v[26:27]
	v_fma_f64 v[14:15], v[4:5], v[26:27], v[2:3]
	v_fma_f64 v[16:17], 0.5, v[12:13], v[6:7]
	v_fma_f64 v[2:3], v[4:5], v[26:27], -v[2:3]
	v_fma_f64 v[14:15], -v[24:25], v[0:1], v[14:15]
	v_fma_f64 v[6:7], v[12:13], 0.5, -v[6:7]
	v_fmac_f64_e32 v[16:17], v[4:5], v[24:25]
	v_fma_f64 v[2:3], -v[24:25], v[0:1], v[2:3]
	v_fma_f64 v[0:1], -v[4:5], v[24:25], v[6:7]
	ds_write2_b64 v9, v[16:17], v[14:15] offset0:216 offset1:217
	ds_write_b128 v8, v[0:3] offset:8736
	s_waitcnt lgkmcnt(0)
	s_barrier
	s_and_saveexec_b64 s[2:3], s[0:1]
	s_cbranch_execz .LBB0_24
; %bb.22:
	ds_read_b128 v[0:3], v220
	ds_read_b128 v[4:7], v220 offset:1456
	ds_read_b128 v[12:15], v220 offset:2912
	v_lshl_add_u64 v[16:17], v[10:11], 4, v[84:85]
	s_movk_i32 s0, 0x5a
	s_waitcnt lgkmcnt(2)
	global_store_dwordx4 v[16:17], v[0:3], off
	s_waitcnt lgkmcnt(1)
	global_store_dwordx4 v[16:17], v[4:7], off offset:1456
	s_waitcnt lgkmcnt(0)
	global_store_dwordx4 v[16:17], v[12:15], off offset:2912
	ds_read_b128 v[0:3], v220 offset:4368
	ds_read_b128 v[4:7], v220 offset:5824
	;; [unrolled: 1-line block ×3, first 2 shown]
	v_add_co_u32_e32 v12, vcc, 0x1000, v16
	s_nop 1
	v_addc_co_u32_e32 v13, vcc, 0, v17, vcc
	s_waitcnt lgkmcnt(2)
	global_store_dwordx4 v[12:13], v[0:3], off offset:272
	s_waitcnt lgkmcnt(1)
	global_store_dwordx4 v[12:13], v[4:7], off offset:1728
	;; [unrolled: 2-line block ×3, first 2 shown]
	ds_read_b128 v[0:3], v220 offset:8736
	ds_read_b128 v[4:7], v220 offset:10192
	;; [unrolled: 1-line block ×3, first 2 shown]
	v_add_co_u32_e32 v12, vcc, 0x2000, v16
	s_nop 1
	v_addc_co_u32_e32 v13, vcc, 0, v17, vcc
	s_waitcnt lgkmcnt(2)
	global_store_dwordx4 v[12:13], v[0:3], off offset:544
	s_waitcnt lgkmcnt(1)
	global_store_dwordx4 v[12:13], v[4:7], off offset:2000
	ds_read_b128 v[0:3], v220 offset:13104
	s_waitcnt lgkmcnt(1)
	global_store_dwordx4 v[12:13], v[8:11], off offset:3456
	v_add_co_u32_e32 v4, vcc, 0x3000, v16
	s_nop 1
	v_addc_co_u32_e32 v5, vcc, 0, v17, vcc
	v_cmp_eq_u32_e32 vcc, s0, v86
	s_waitcnt lgkmcnt(0)
	global_store_dwordx4 v[4:5], v[0:3], off offset:816
	s_and_b64 exec, exec, vcc
	s_cbranch_execz .LBB0_24
; %bb.23:
	ds_read_b128 v[0:3], v220 offset:13120
	v_add_co_u32_e32 v4, vcc, 0x3000, v84
	s_nop 1
	v_addc_co_u32_e32 v5, vcc, 0, v85, vcc
	s_waitcnt lgkmcnt(0)
	global_store_dwordx4 v[4:5], v[0:3], off offset:2272
.LBB0_24:
	s_endpgm
	.section	.rodata,"a",@progbits
	.p2align	6, 0x0
	.amdhsa_kernel fft_rtc_back_len910_factors_13_2_7_5_wgs_182_tpt_91_dp_ip_CI_unitstride_sbrr_R2C_dirReg
		.amdhsa_group_segment_fixed_size 0
		.amdhsa_private_segment_fixed_size 0
		.amdhsa_kernarg_size 88
		.amdhsa_user_sgpr_count 2
		.amdhsa_user_sgpr_dispatch_ptr 0
		.amdhsa_user_sgpr_queue_ptr 0
		.amdhsa_user_sgpr_kernarg_segment_ptr 1
		.amdhsa_user_sgpr_dispatch_id 0
		.amdhsa_user_sgpr_kernarg_preload_length 0
		.amdhsa_user_sgpr_kernarg_preload_offset 0
		.amdhsa_user_sgpr_private_segment_size 0
		.amdhsa_uses_dynamic_stack 0
		.amdhsa_enable_private_segment 0
		.amdhsa_system_sgpr_workgroup_id_x 1
		.amdhsa_system_sgpr_workgroup_id_y 0
		.amdhsa_system_sgpr_workgroup_id_z 0
		.amdhsa_system_sgpr_workgroup_info 0
		.amdhsa_system_vgpr_workitem_id 0
		.amdhsa_next_free_vgpr 254
		.amdhsa_next_free_sgpr 40
		.amdhsa_accum_offset 256
		.amdhsa_reserve_vcc 1
		.amdhsa_float_round_mode_32 0
		.amdhsa_float_round_mode_16_64 0
		.amdhsa_float_denorm_mode_32 3
		.amdhsa_float_denorm_mode_16_64 3
		.amdhsa_dx10_clamp 1
		.amdhsa_ieee_mode 1
		.amdhsa_fp16_overflow 0
		.amdhsa_tg_split 0
		.amdhsa_exception_fp_ieee_invalid_op 0
		.amdhsa_exception_fp_denorm_src 0
		.amdhsa_exception_fp_ieee_div_zero 0
		.amdhsa_exception_fp_ieee_overflow 0
		.amdhsa_exception_fp_ieee_underflow 0
		.amdhsa_exception_fp_ieee_inexact 0
		.amdhsa_exception_int_div_zero 0
	.end_amdhsa_kernel
	.text
.Lfunc_end0:
	.size	fft_rtc_back_len910_factors_13_2_7_5_wgs_182_tpt_91_dp_ip_CI_unitstride_sbrr_R2C_dirReg, .Lfunc_end0-fft_rtc_back_len910_factors_13_2_7_5_wgs_182_tpt_91_dp_ip_CI_unitstride_sbrr_R2C_dirReg
                                        ; -- End function
	.section	.AMDGPU.csdata,"",@progbits
; Kernel info:
; codeLenInByte = 11304
; NumSgprs: 46
; NumVgprs: 254
; NumAgprs: 0
; TotalNumVgprs: 254
; ScratchSize: 0
; MemoryBound: 0
; FloatMode: 240
; IeeeMode: 1
; LDSByteSize: 0 bytes/workgroup (compile time only)
; SGPRBlocks: 5
; VGPRBlocks: 31
; NumSGPRsForWavesPerEU: 46
; NumVGPRsForWavesPerEU: 254
; AccumOffset: 256
; Occupancy: 2
; WaveLimiterHint : 1
; COMPUTE_PGM_RSRC2:SCRATCH_EN: 0
; COMPUTE_PGM_RSRC2:USER_SGPR: 2
; COMPUTE_PGM_RSRC2:TRAP_HANDLER: 0
; COMPUTE_PGM_RSRC2:TGID_X_EN: 1
; COMPUTE_PGM_RSRC2:TGID_Y_EN: 0
; COMPUTE_PGM_RSRC2:TGID_Z_EN: 0
; COMPUTE_PGM_RSRC2:TIDIG_COMP_CNT: 0
; COMPUTE_PGM_RSRC3_GFX90A:ACCUM_OFFSET: 63
; COMPUTE_PGM_RSRC3_GFX90A:TG_SPLIT: 0
	.text
	.p2alignl 6, 3212836864
	.fill 256, 4, 3212836864
	.type	__hip_cuid_d3b847859c31d8e3,@object ; @__hip_cuid_d3b847859c31d8e3
	.section	.bss,"aw",@nobits
	.globl	__hip_cuid_d3b847859c31d8e3
__hip_cuid_d3b847859c31d8e3:
	.byte	0                               ; 0x0
	.size	__hip_cuid_d3b847859c31d8e3, 1

	.ident	"AMD clang version 19.0.0git (https://github.com/RadeonOpenCompute/llvm-project roc-6.4.0 25133 c7fe45cf4b819c5991fe208aaa96edf142730f1d)"
	.section	".note.GNU-stack","",@progbits
	.addrsig
	.addrsig_sym __hip_cuid_d3b847859c31d8e3
	.amdgpu_metadata
---
amdhsa.kernels:
  - .agpr_count:     0
    .args:
      - .actual_access:  read_only
        .address_space:  global
        .offset:         0
        .size:           8
        .value_kind:     global_buffer
      - .offset:         8
        .size:           8
        .value_kind:     by_value
      - .actual_access:  read_only
        .address_space:  global
        .offset:         16
        .size:           8
        .value_kind:     global_buffer
      - .actual_access:  read_only
        .address_space:  global
        .offset:         24
        .size:           8
        .value_kind:     global_buffer
      - .offset:         32
        .size:           8
        .value_kind:     by_value
      - .actual_access:  read_only
        .address_space:  global
        .offset:         40
        .size:           8
        .value_kind:     global_buffer
      - .actual_access:  read_only
        .address_space:  global
        .offset:         48
        .size:           8
        .value_kind:     global_buffer
      - .offset:         56
        .size:           4
        .value_kind:     by_value
      - .actual_access:  read_only
        .address_space:  global
        .offset:         64
        .size:           8
        .value_kind:     global_buffer
      - .actual_access:  read_only
        .address_space:  global
        .offset:         72
        .size:           8
        .value_kind:     global_buffer
      - .address_space:  global
        .offset:         80
        .size:           8
        .value_kind:     global_buffer
    .group_segment_fixed_size: 0
    .kernarg_segment_align: 8
    .kernarg_segment_size: 88
    .language:       OpenCL C
    .language_version:
      - 2
      - 0
    .max_flat_workgroup_size: 182
    .name:           fft_rtc_back_len910_factors_13_2_7_5_wgs_182_tpt_91_dp_ip_CI_unitstride_sbrr_R2C_dirReg
    .private_segment_fixed_size: 0
    .sgpr_count:     46
    .sgpr_spill_count: 0
    .symbol:         fft_rtc_back_len910_factors_13_2_7_5_wgs_182_tpt_91_dp_ip_CI_unitstride_sbrr_R2C_dirReg.kd
    .uniform_work_group_size: 1
    .uses_dynamic_stack: false
    .vgpr_count:     254
    .vgpr_spill_count: 0
    .wavefront_size: 64
amdhsa.target:   amdgcn-amd-amdhsa--gfx950
amdhsa.version:
  - 1
  - 2
...

	.end_amdgpu_metadata
